;; amdgpu-corpus repo=ROCm/rocFFT kind=compiled arch=gfx1201 opt=O3
	.text
	.amdgcn_target "amdgcn-amd-amdhsa--gfx1201"
	.amdhsa_code_object_version 6
	.protected	fft_rtc_back_len4000_factors_10_10_10_4_wgs_200_tpt_200_halfLds_half_ip_CI_unitstride_sbrr_R2C_dirReg ; -- Begin function fft_rtc_back_len4000_factors_10_10_10_4_wgs_200_tpt_200_halfLds_half_ip_CI_unitstride_sbrr_R2C_dirReg
	.globl	fft_rtc_back_len4000_factors_10_10_10_4_wgs_200_tpt_200_halfLds_half_ip_CI_unitstride_sbrr_R2C_dirReg
	.p2align	8
	.type	fft_rtc_back_len4000_factors_10_10_10_4_wgs_200_tpt_200_halfLds_half_ip_CI_unitstride_sbrr_R2C_dirReg,@function
fft_rtc_back_len4000_factors_10_10_10_4_wgs_200_tpt_200_halfLds_half_ip_CI_unitstride_sbrr_R2C_dirReg: ; @fft_rtc_back_len4000_factors_10_10_10_4_wgs_200_tpt_200_halfLds_half_ip_CI_unitstride_sbrr_R2C_dirReg
; %bb.0:
	s_clause 0x2
	s_load_b128 s[4:7], s[0:1], 0x0
	s_load_b64 s[8:9], s[0:1], 0x50
	s_load_b64 s[10:11], s[0:1], 0x18
	v_mul_u32_u24_e32 v1, 0x148, v0
	v_mov_b32_e32 v3, 0
	s_delay_alu instid0(VALU_DEP_2) | instskip(NEXT) | instid1(VALU_DEP_1)
	v_lshrrev_b32_e32 v1, 16, v1
	v_add_nc_u32_e32 v5, ttmp9, v1
	v_mov_b32_e32 v1, 0
	v_mov_b32_e32 v2, 0
	;; [unrolled: 1-line block ×3, first 2 shown]
	s_wait_kmcnt 0x0
	v_cmp_lt_u64_e64 s2, s[6:7], 2
	s_delay_alu instid0(VALU_DEP_1)
	s_and_b32 vcc_lo, exec_lo, s2
	s_cbranch_vccnz .LBB0_8
; %bb.1:
	s_load_b64 s[2:3], s[0:1], 0x10
	v_mov_b32_e32 v1, 0
	v_mov_b32_e32 v2, 0
	s_add_nc_u64 s[12:13], s[10:11], 8
	s_mov_b64 s[14:15], 1
	s_wait_kmcnt 0x0
	s_add_nc_u64 s[16:17], s[2:3], 8
	s_mov_b32 s3, 0
.LBB0_2:                                ; =>This Inner Loop Header: Depth=1
	s_load_b64 s[18:19], s[16:17], 0x0
                                        ; implicit-def: $vgpr9_vgpr10
	s_mov_b32 s2, exec_lo
	s_wait_kmcnt 0x0
	v_or_b32_e32 v4, s19, v6
	s_delay_alu instid0(VALU_DEP_1)
	v_cmpx_ne_u64_e32 0, v[3:4]
	s_wait_alu 0xfffe
	s_xor_b32 s20, exec_lo, s2
	s_cbranch_execz .LBB0_4
; %bb.3:                                ;   in Loop: Header=BB0_2 Depth=1
	s_cvt_f32_u32 s2, s18
	s_cvt_f32_u32 s21, s19
	s_sub_nc_u64 s[24:25], 0, s[18:19]
	s_wait_alu 0xfffe
	s_delay_alu instid0(SALU_CYCLE_1) | instskip(SKIP_1) | instid1(SALU_CYCLE_2)
	s_fmamk_f32 s2, s21, 0x4f800000, s2
	s_wait_alu 0xfffe
	v_s_rcp_f32 s2, s2
	s_delay_alu instid0(TRANS32_DEP_1) | instskip(SKIP_1) | instid1(SALU_CYCLE_2)
	s_mul_f32 s2, s2, 0x5f7ffffc
	s_wait_alu 0xfffe
	s_mul_f32 s21, s2, 0x2f800000
	s_wait_alu 0xfffe
	s_delay_alu instid0(SALU_CYCLE_2) | instskip(SKIP_1) | instid1(SALU_CYCLE_2)
	s_trunc_f32 s21, s21
	s_wait_alu 0xfffe
	s_fmamk_f32 s2, s21, 0xcf800000, s2
	s_cvt_u32_f32 s23, s21
	s_wait_alu 0xfffe
	s_delay_alu instid0(SALU_CYCLE_1) | instskip(SKIP_1) | instid1(SALU_CYCLE_2)
	s_cvt_u32_f32 s22, s2
	s_wait_alu 0xfffe
	s_mul_u64 s[26:27], s[24:25], s[22:23]
	s_wait_alu 0xfffe
	s_mul_hi_u32 s29, s22, s27
	s_mul_i32 s28, s22, s27
	s_mul_hi_u32 s2, s22, s26
	s_mul_i32 s30, s23, s26
	s_wait_alu 0xfffe
	s_add_nc_u64 s[28:29], s[2:3], s[28:29]
	s_mul_hi_u32 s21, s23, s26
	s_mul_hi_u32 s31, s23, s27
	s_add_co_u32 s2, s28, s30
	s_wait_alu 0xfffe
	s_add_co_ci_u32 s2, s29, s21
	s_mul_i32 s26, s23, s27
	s_add_co_ci_u32 s27, s31, 0
	s_wait_alu 0xfffe
	s_add_nc_u64 s[26:27], s[2:3], s[26:27]
	s_wait_alu 0xfffe
	v_add_co_u32 v4, s2, s22, s26
	s_delay_alu instid0(VALU_DEP_1) | instskip(SKIP_1) | instid1(VALU_DEP_1)
	s_cmp_lg_u32 s2, 0
	s_add_co_ci_u32 s23, s23, s27
	v_readfirstlane_b32 s22, v4
	s_wait_alu 0xfffe
	s_delay_alu instid0(VALU_DEP_1)
	s_mul_u64 s[24:25], s[24:25], s[22:23]
	s_wait_alu 0xfffe
	s_mul_hi_u32 s27, s22, s25
	s_mul_i32 s26, s22, s25
	s_mul_hi_u32 s2, s22, s24
	s_mul_i32 s28, s23, s24
	s_wait_alu 0xfffe
	s_add_nc_u64 s[26:27], s[2:3], s[26:27]
	s_mul_hi_u32 s21, s23, s24
	s_mul_hi_u32 s22, s23, s25
	s_wait_alu 0xfffe
	s_add_co_u32 s2, s26, s28
	s_add_co_ci_u32 s2, s27, s21
	s_mul_i32 s24, s23, s25
	s_add_co_ci_u32 s25, s22, 0
	s_wait_alu 0xfffe
	s_add_nc_u64 s[24:25], s[2:3], s[24:25]
	s_wait_alu 0xfffe
	v_add_co_u32 v4, s2, v4, s24
	s_delay_alu instid0(VALU_DEP_1) | instskip(SKIP_1) | instid1(VALU_DEP_1)
	s_cmp_lg_u32 s2, 0
	s_add_co_ci_u32 s2, s23, s25
	v_mul_hi_u32 v13, v5, v4
	s_wait_alu 0xfffe
	v_mad_co_u64_u32 v[7:8], null, v5, s2, 0
	v_mad_co_u64_u32 v[9:10], null, v6, v4, 0
	;; [unrolled: 1-line block ×3, first 2 shown]
	s_delay_alu instid0(VALU_DEP_3) | instskip(SKIP_1) | instid1(VALU_DEP_4)
	v_add_co_u32 v4, vcc_lo, v13, v7
	s_wait_alu 0xfffd
	v_add_co_ci_u32_e32 v7, vcc_lo, 0, v8, vcc_lo
	s_delay_alu instid0(VALU_DEP_2) | instskip(SKIP_1) | instid1(VALU_DEP_2)
	v_add_co_u32 v4, vcc_lo, v4, v9
	s_wait_alu 0xfffd
	v_add_co_ci_u32_e32 v4, vcc_lo, v7, v10, vcc_lo
	s_wait_alu 0xfffd
	v_add_co_ci_u32_e32 v7, vcc_lo, 0, v12, vcc_lo
	s_delay_alu instid0(VALU_DEP_2) | instskip(SKIP_1) | instid1(VALU_DEP_2)
	v_add_co_u32 v4, vcc_lo, v4, v11
	s_wait_alu 0xfffd
	v_add_co_ci_u32_e32 v9, vcc_lo, 0, v7, vcc_lo
	s_delay_alu instid0(VALU_DEP_2) | instskip(SKIP_1) | instid1(VALU_DEP_3)
	v_mul_lo_u32 v10, s19, v4
	v_mad_co_u64_u32 v[7:8], null, s18, v4, 0
	v_mul_lo_u32 v11, s18, v9
	s_delay_alu instid0(VALU_DEP_2) | instskip(NEXT) | instid1(VALU_DEP_2)
	v_sub_co_u32 v7, vcc_lo, v5, v7
	v_add3_u32 v8, v8, v11, v10
	s_delay_alu instid0(VALU_DEP_1) | instskip(SKIP_1) | instid1(VALU_DEP_1)
	v_sub_nc_u32_e32 v10, v6, v8
	s_wait_alu 0xfffd
	v_subrev_co_ci_u32_e64 v10, s2, s19, v10, vcc_lo
	v_add_co_u32 v11, s2, v4, 2
	s_wait_alu 0xf1ff
	v_add_co_ci_u32_e64 v12, s2, 0, v9, s2
	v_sub_co_u32 v13, s2, v7, s18
	v_sub_co_ci_u32_e32 v8, vcc_lo, v6, v8, vcc_lo
	s_wait_alu 0xf1ff
	v_subrev_co_ci_u32_e64 v10, s2, 0, v10, s2
	s_delay_alu instid0(VALU_DEP_3) | instskip(NEXT) | instid1(VALU_DEP_3)
	v_cmp_le_u32_e32 vcc_lo, s18, v13
	v_cmp_eq_u32_e64 s2, s19, v8
	s_wait_alu 0xfffd
	v_cndmask_b32_e64 v13, 0, -1, vcc_lo
	v_cmp_le_u32_e32 vcc_lo, s19, v10
	s_wait_alu 0xfffd
	v_cndmask_b32_e64 v14, 0, -1, vcc_lo
	v_cmp_le_u32_e32 vcc_lo, s18, v7
	;; [unrolled: 3-line block ×3, first 2 shown]
	s_wait_alu 0xfffd
	v_cndmask_b32_e64 v15, 0, -1, vcc_lo
	v_cmp_eq_u32_e32 vcc_lo, s19, v10
	s_wait_alu 0xf1ff
	s_delay_alu instid0(VALU_DEP_2)
	v_cndmask_b32_e64 v7, v15, v7, s2
	s_wait_alu 0xfffd
	v_cndmask_b32_e32 v10, v14, v13, vcc_lo
	v_add_co_u32 v13, vcc_lo, v4, 1
	s_wait_alu 0xfffd
	v_add_co_ci_u32_e32 v14, vcc_lo, 0, v9, vcc_lo
	s_delay_alu instid0(VALU_DEP_3) | instskip(SKIP_1) | instid1(VALU_DEP_2)
	v_cmp_ne_u32_e32 vcc_lo, 0, v10
	s_wait_alu 0xfffd
	v_dual_cndmask_b32 v11, v13, v11 :: v_dual_cndmask_b32 v8, v14, v12
	v_cmp_ne_u32_e32 vcc_lo, 0, v7
	s_wait_alu 0xfffd
	s_delay_alu instid0(VALU_DEP_2)
	v_dual_cndmask_b32 v10, v9, v8 :: v_dual_cndmask_b32 v9, v4, v11
.LBB0_4:                                ;   in Loop: Header=BB0_2 Depth=1
	s_wait_alu 0xfffe
	s_and_not1_saveexec_b32 s2, s20
	s_cbranch_execz .LBB0_6
; %bb.5:                                ;   in Loop: Header=BB0_2 Depth=1
	v_cvt_f32_u32_e32 v4, s18
	s_sub_co_i32 s20, 0, s18
	v_mov_b32_e32 v10, v3
	s_delay_alu instid0(VALU_DEP_2) | instskip(NEXT) | instid1(TRANS32_DEP_1)
	v_rcp_iflag_f32_e32 v4, v4
	v_mul_f32_e32 v4, 0x4f7ffffe, v4
	s_delay_alu instid0(VALU_DEP_1) | instskip(SKIP_1) | instid1(VALU_DEP_1)
	v_cvt_u32_f32_e32 v4, v4
	s_wait_alu 0xfffe
	v_mul_lo_u32 v7, s20, v4
	s_delay_alu instid0(VALU_DEP_1) | instskip(NEXT) | instid1(VALU_DEP_1)
	v_mul_hi_u32 v7, v4, v7
	v_add_nc_u32_e32 v4, v4, v7
	s_delay_alu instid0(VALU_DEP_1) | instskip(NEXT) | instid1(VALU_DEP_1)
	v_mul_hi_u32 v4, v5, v4
	v_mul_lo_u32 v7, v4, s18
	v_add_nc_u32_e32 v8, 1, v4
	s_delay_alu instid0(VALU_DEP_2) | instskip(NEXT) | instid1(VALU_DEP_1)
	v_sub_nc_u32_e32 v7, v5, v7
	v_subrev_nc_u32_e32 v9, s18, v7
	v_cmp_le_u32_e32 vcc_lo, s18, v7
	s_wait_alu 0xfffd
	s_delay_alu instid0(VALU_DEP_2) | instskip(NEXT) | instid1(VALU_DEP_1)
	v_dual_cndmask_b32 v7, v7, v9 :: v_dual_cndmask_b32 v4, v4, v8
	v_cmp_le_u32_e32 vcc_lo, s18, v7
	s_delay_alu instid0(VALU_DEP_2) | instskip(SKIP_1) | instid1(VALU_DEP_1)
	v_add_nc_u32_e32 v8, 1, v4
	s_wait_alu 0xfffd
	v_cndmask_b32_e32 v9, v4, v8, vcc_lo
.LBB0_6:                                ;   in Loop: Header=BB0_2 Depth=1
	s_wait_alu 0xfffe
	s_or_b32 exec_lo, exec_lo, s2
	s_load_b64 s[20:21], s[12:13], 0x0
	v_mul_lo_u32 v4, v10, s18
	v_mul_lo_u32 v11, v9, s19
	v_mad_co_u64_u32 v[7:8], null, v9, s18, 0
	s_add_nc_u64 s[14:15], s[14:15], 1
	s_add_nc_u64 s[12:13], s[12:13], 8
	s_wait_alu 0xfffe
	v_cmp_ge_u64_e64 s2, s[14:15], s[6:7]
	s_add_nc_u64 s[16:17], s[16:17], 8
	s_delay_alu instid0(VALU_DEP_2) | instskip(NEXT) | instid1(VALU_DEP_3)
	v_add3_u32 v4, v8, v11, v4
	v_sub_co_u32 v5, vcc_lo, v5, v7
	s_wait_alu 0xfffd
	s_delay_alu instid0(VALU_DEP_2) | instskip(SKIP_3) | instid1(VALU_DEP_2)
	v_sub_co_ci_u32_e32 v4, vcc_lo, v6, v4, vcc_lo
	s_and_b32 vcc_lo, exec_lo, s2
	s_wait_kmcnt 0x0
	v_mul_lo_u32 v6, s21, v5
	v_mul_lo_u32 v4, s20, v4
	v_mad_co_u64_u32 v[1:2], null, s20, v5, v[1:2]
	s_delay_alu instid0(VALU_DEP_1)
	v_add3_u32 v2, v6, v2, v4
	s_wait_alu 0xfffe
	s_cbranch_vccnz .LBB0_9
; %bb.7:                                ;   in Loop: Header=BB0_2 Depth=1
	v_dual_mov_b32 v5, v9 :: v_dual_mov_b32 v6, v10
	s_branch .LBB0_2
.LBB0_8:
	v_dual_mov_b32 v10, v6 :: v_dual_mov_b32 v9, v5
.LBB0_9:
	s_lshl_b64 s[2:3], s[6:7], 3
	v_mul_hi_u32 v3, 0x147ae15, v0
	s_wait_alu 0xfffe
	s_add_nc_u64 s[2:3], s[10:11], s[2:3]
	s_load_b64 s[0:1], s[0:1], 0x20
	s_load_b64 s[2:3], s[2:3], 0x0
	s_delay_alu instid0(VALU_DEP_1) | instskip(NEXT) | instid1(VALU_DEP_1)
	v_mul_u32_u24_e32 v3, 0xc8, v3
	v_sub_nc_u32_e32 v0, v0, v3
	s_delay_alu instid0(VALU_DEP_1)
	v_add_nc_u32_e32 v4, 0xc8, v0
	v_add_nc_u32_e32 v8, 0x190, v0
	;; [unrolled: 1-line block ×4, first 2 shown]
	s_wait_kmcnt 0x0
	v_cmp_gt_u64_e32 vcc_lo, s[0:1], v[9:10]
	v_mul_lo_u32 v3, s2, v10
	v_mul_lo_u32 v5, s3, v9
	v_mad_co_u64_u32 v[1:2], null, s2, v9, v[1:2]
	v_cmp_le_u64_e64 s0, s[0:1], v[9:10]
	s_delay_alu instid0(VALU_DEP_2) | instskip(NEXT) | instid1(VALU_DEP_2)
	v_add3_u32 v2, v5, v2, v3
	s_and_saveexec_b32 s1, s0
	s_wait_alu 0xfffe
	s_xor_b32 s0, exec_lo, s1
; %bb.10:
	v_add_nc_u32_e32 v4, 0xc8, v0
	v_add_nc_u32_e32 v8, 0x190, v0
	;; [unrolled: 1-line block ×4, first 2 shown]
; %bb.11:
	s_wait_alu 0xfffe
	s_or_saveexec_b32 s1, s0
	v_lshlrev_b64_e32 v[2:3], 2, v[1:2]
	s_wait_alu 0xfffe
	s_xor_b32 exec_lo, exec_lo, s1
	s_cbranch_execz .LBB0_13
; %bb.12:
	v_mov_b32_e32 v1, 0
	s_delay_alu instid0(VALU_DEP_1) | instskip(SKIP_3) | instid1(VALU_DEP_2)
	v_lshlrev_b64_e32 v[9:10], 2, v[0:1]
	v_add_co_u32 v1, s0, s8, v2
	s_wait_alu 0xf1ff
	v_add_co_ci_u32_e64 v5, s0, s9, v3, s0
	v_add_co_u32 v9, s0, v1, v9
	s_wait_alu 0xf1ff
	s_delay_alu instid0(VALU_DEP_2)
	v_add_co_ci_u32_e64 v10, s0, v5, v10, s0
	s_clause 0x13
	global_load_b32 v1, v[9:10], off
	global_load_b32 v5, v[9:10], off offset:800
	global_load_b32 v11, v[9:10], off offset:1600
	;; [unrolled: 1-line block ×19, first 2 shown]
	v_lshl_add_u32 v10, v0, 2, 0
	s_delay_alu instid0(VALU_DEP_1)
	v_add_nc_u32_e32 v28, 0x600, v10
	v_add_nc_u32_e32 v29, 0xc00, v10
	v_add_nc_u32_e32 v30, 0x1200, v10
	v_add_nc_u32_e32 v31, 0x1900, v10
	v_add_nc_u32_e32 v32, 0x1f00, v10
	v_add_nc_u32_e32 v33, 0x2500, v10
	v_add_nc_u32_e32 v34, 0x2b00, v10
	v_add_nc_u32_e32 v35, 0x3200, v10
	v_add_nc_u32_e32 v36, 0x3800, v10
	s_wait_loadcnt 0x12
	ds_store_2addr_b32 v10, v1, v5 offset1:200
	s_wait_loadcnt 0x10
	ds_store_2addr_b32 v28, v11, v12 offset0:16 offset1:216
	s_wait_loadcnt 0xe
	ds_store_2addr_b32 v29, v13, v14 offset0:32 offset1:232
	;; [unrolled: 2-line block ×3, first 2 shown]
	s_wait_loadcnt 0xa
	ds_store_2addr_b32 v31, v17, v18 offset1:200
	s_wait_loadcnt 0x8
	ds_store_2addr_b32 v32, v19, v20 offset0:16 offset1:216
	s_wait_loadcnt 0x6
	ds_store_2addr_b32 v33, v21, v22 offset0:32 offset1:232
	;; [unrolled: 2-line block ×3, first 2 shown]
	s_wait_loadcnt 0x2
	ds_store_2addr_b32 v35, v25, v26 offset1:200
	s_wait_loadcnt 0x0
	ds_store_2addr_b32 v36, v27, v9 offset0:16 offset1:216
.LBB0_13:
	s_or_b32 exec_lo, exec_lo, s1
	v_lshlrev_b32_e32 v1, 2, v0
	global_wb scope:SCOPE_SE
	s_wait_dscnt 0x0
	s_barrier_signal -1
	s_barrier_wait -1
	global_inv scope:SCOPE_SE
	v_add_nc_u32_e32 v19, 0, v1
	v_mul_i32_i24_e32 v5, 10, v4
	v_cmp_gt_u32_e64 s0, 0x64, v0
	s_mov_b32 s1, exec_lo
	s_delay_alu instid0(VALU_DEP_3)
	v_add_nc_u32_e32 v9, 0x1900, v19
	v_add_nc_u32_e32 v10, 0x2500, v19
	;; [unrolled: 1-line block ×4, first 2 shown]
	ds_load_2addr_b32 v[22:23], v19 offset1:200
	ds_load_2addr_b32 v[24:25], v9 offset1:200
	ds_load_2addr_b32 v[26:27], v10 offset0:32 offset1:232
	ds_load_2addr_b32 v[28:29], v11 offset0:32 offset1:232
	ds_load_2addr_b32 v[30:31], v12 offset1:200
	v_add_nc_u32_e32 v9, 0x600, v19
	v_add_nc_u32_e32 v10, 0x1200, v19
	;; [unrolled: 1-line block ×5, first 2 shown]
	ds_load_2addr_b32 v[15:16], v9 offset0:16 offset1:216
	ds_load_2addr_b32 v[17:18], v10 offset0:48 offset1:248
	;; [unrolled: 1-line block ×5, first 2 shown]
	v_lshl_add_u32 v20, v5, 2, 0
	v_mad_u32_u24 v5, v0, 36, v19
	global_wb scope:SCOPE_SE
	s_wait_dscnt 0x0
	s_barrier_signal -1
	s_barrier_wait -1
	global_inv scope:SCOPE_SE
	v_lshrrev_b32_e32 v32, 16, v23
	v_lshrrev_b32_e32 v35, 16, v25
	v_add_f16_e32 v21, v25, v27
	v_lshrrev_b32_e32 v33, 16, v29
	v_lshrrev_b32_e32 v34, 16, v31
	;; [unrolled: 1-line block ×3, first 2 shown]
	v_sub_f16_e32 v37, v31, v27
	v_sub_f16_e32 v38, v29, v25
	v_add_f16_e32 v39, v29, v31
	v_sub_f16_e32 v40, v27, v31
	v_sub_f16_e32 v41, v25, v29
	v_fma_f16 v42, -0.5, v21, v23
	v_sub_f16_e32 v21, v33, v34
	v_sub_f16_e32 v43, v35, v36
	v_fma_f16 v39, -0.5, v39, v23
	v_pk_add_f16 v23, v23, v29
	v_add_f16_e32 v37, v38, v37
	v_fmamk_f16 v38, v21, 0xbb9c, v42
	v_fmac_f16_e32 v42, 0x3b9c, v21
	v_add_f16_e32 v40, v41, v40
	v_add_f16_e32 v41, v35, v36
	v_fmamk_f16 v44, v43, 0x3b9c, v39
	v_fmac_f16_e32 v38, 0xb8b4, v43
	v_fmac_f16_e32 v42, 0x38b4, v43
	v_sub_f16_e32 v29, v29, v31
	v_fma_f16 v41, -0.5, v41, v32
	v_fmac_f16_e32 v39, 0xbb9c, v43
	v_pk_add_f16 v23, v23, v25
	v_fmac_f16_e32 v44, 0xb8b4, v21
	v_fmac_f16_e32 v38, 0x34f2, v37
	;; [unrolled: 1-line block ×3, first 2 shown]
	v_fmamk_f16 v37, v29, 0x3b9c, v41
	v_sub_f16_e32 v25, v25, v27
	v_sub_f16_e32 v43, v33, v35
	;; [unrolled: 1-line block ×3, first 2 shown]
	v_fmac_f16_e32 v39, 0x38b4, v21
	v_fmac_f16_e32 v41, 0xbb9c, v29
	v_pk_add_f16 v21, v23, v27
	v_add_f16_e32 v27, v33, v34
	v_fmac_f16_e32 v37, 0x38b4, v25
	v_add_f16_e32 v23, v43, v45
	v_fmac_f16_e32 v41, 0xb8b4, v25
	v_fmac_f16_e32 v44, 0x34f2, v40
	v_fmac_f16_e32 v32, -0.5, v27
	v_fmac_f16_e32 v39, 0x34f2, v40
	v_pk_add_f16 v21, v21, v31
	v_fmac_f16_e32 v37, 0x34f2, v23
	v_fmac_f16_e32 v41, 0x34f2, v23
	v_add_f16_e32 v23, v14, v12
	v_lshrrev_b32_e32 v27, 16, v18
	v_lshrrev_b32_e32 v31, 16, v10
	v_fmamk_f16 v40, v25, 0xbb9c, v32
	v_fmac_f16_e32 v32, 0x3b9c, v25
	v_sub_f16_e32 v33, v35, v33
	v_sub_f16_e32 v34, v36, v34
	v_fma_f16 v23, -0.5, v23, v16
	v_sub_f16_e32 v35, v27, v31
	v_lshrrev_b32_e32 v36, 16, v14
	v_lshrrev_b32_e32 v43, 16, v12
	v_fmac_f16_e32 v40, 0x38b4, v29
	v_fmac_f16_e32 v32, 0xb8b4, v29
	v_add_f16_e32 v29, v18, v10
	v_add_f16_e32 v33, v33, v34
	v_fmamk_f16 v25, v35, 0xbb9c, v23
	v_sub_f16_e32 v34, v36, v43
	v_sub_f16_e32 v45, v10, v12
	;; [unrolled: 1-line block ×3, first 2 shown]
	v_fmac_f16_e32 v23, 0x3b9c, v35
	v_fma_f16 v29, -0.5, v29, v16
	v_fmac_f16_e32 v25, 0xb8b4, v34
	v_fmac_f16_e32 v40, 0x34f2, v33
	v_add_f16_e32 v45, v46, v45
	v_fmac_f16_e32 v23, 0x38b4, v34
	v_fmamk_f16 v46, v34, 0x3b9c, v29
	v_fmac_f16_e32 v29, 0xbb9c, v34
	v_fmac_f16_e32 v32, 0x34f2, v33
	;; [unrolled: 1-line block ×4, first 2 shown]
	v_add_f16_e32 v33, v36, v43
	v_lshrrev_b32_e32 v45, 16, v16
	v_sub_f16_e32 v47, v12, v10
	v_sub_f16_e32 v48, v14, v18
	v_fmac_f16_e32 v46, 0xb8b4, v35
	v_fmac_f16_e32 v29, 0x38b4, v35
	v_add_f16_e32 v35, v27, v31
	v_fma_f16 v33, -0.5, v33, v45
	v_sub_f16_e32 v34, v18, v10
	v_add_f16_e32 v47, v48, v47
	v_sub_f16_e32 v49, v14, v12
	v_fmac_f16_e32 v45, -0.5, v35
	v_pk_add_f16 v16, v16, v18
	v_fmamk_f16 v48, v34, 0x3b9c, v33
	v_fmac_f16_e32 v46, 0x34f2, v47
	v_fmac_f16_e32 v29, 0x34f2, v47
	v_sub_f16_e32 v18, v27, v36
	v_sub_f16_e32 v35, v31, v43
	v_fmamk_f16 v47, v49, 0xbb9c, v45
	v_sub_f16_e32 v27, v36, v27
	v_sub_f16_e32 v31, v43, v31
	v_fmac_f16_e32 v45, 0x3b9c, v49
	v_fmac_f16_e32 v33, 0xbb9c, v34
	v_add_f16_e32 v18, v18, v35
	v_fmac_f16_e32 v47, 0x38b4, v34
	v_add_f16_e32 v27, v27, v31
	v_fmac_f16_e32 v45, 0xb8b4, v34
	v_fmac_f16_e32 v33, 0xb8b4, v49
	;; [unrolled: 1-line block ×3, first 2 shown]
	v_pk_add_f16 v14, v16, v14
	v_fmac_f16_e32 v47, 0x34f2, v27
	v_fmac_f16_e32 v45, 0x34f2, v27
	v_fmac_f16_e32 v33, 0x34f2, v18
	v_fmac_f16_e32 v48, 0x34f2, v18
	v_pk_add_f16 v12, v14, v12
	v_mul_f16_e32 v16, 0xbb9c, v47
	v_mul_f16_e32 v18, 0xbb9c, v45
	;; [unrolled: 1-line block ×7, first 2 shown]
	v_pk_add_f16 v10, v12, v10
	v_fmac_f16_e32 v16, 0x34f2, v46
	v_fmac_f16_e32 v18, 0xb4f2, v29
	;; [unrolled: 1-line block ×3, first 2 shown]
	v_mul_f16_e32 v12, 0x38b4, v25
	v_fmac_f16_e32 v36, 0x3b9c, v46
	v_fmac_f16_e32 v43, 0x3b9c, v29
	;; [unrolled: 1-line block ×3, first 2 shown]
	v_add_f16_e32 v23, v24, v26
	v_lshrrev_b32_e32 v29, 16, v28
	v_lshrrev_b32_e32 v46, 16, v30
	v_fmac_f16_e32 v14, 0x3a79, v25
	v_add_f16_e32 v31, v44, v16
	v_add_f16_e32 v35, v42, v27
	v_fmac_f16_e32 v12, 0x3a79, v48
	v_fma_f16 v23, -0.5, v23, v22
	v_sub_f16_e32 v51, v29, v46
	v_lshrrev_b32_e32 v52, 16, v24
	v_lshrrev_b32_e32 v53, 16, v26
	v_sub_f16_e32 v16, v44, v16
	v_sub_f16_e32 v44, v30, v26
	;; [unrolled: 1-line block ×4, first 2 shown]
	v_add_f16_e32 v42, v28, v30
	v_add_f16_e32 v25, v38, v14
	v_add_f16_e32 v34, v39, v18
	v_add_f16_e32 v47, v37, v12
	v_add_f16_e32 v48, v40, v36
	v_add_f16_e32 v49, v32, v43
	v_sub_f16_e32 v14, v38, v14
	v_sub_f16_e32 v18, v39, v18
	v_fmamk_f16 v38, v51, 0xbb9c, v23
	v_sub_f16_e32 v39, v52, v53
	v_sub_f16_e32 v12, v37, v12
	v_add_f16_e32 v37, v54, v44
	v_sub_f16_e32 v36, v40, v36
	v_fma_f16 v40, -0.5, v42, v22
	v_sub_f16_e32 v32, v32, v43
	v_fmac_f16_e32 v23, 0x3b9c, v51
	v_sub_f16_e32 v42, v26, v30
	v_sub_f16_e32 v43, v24, v28
	v_add_f16_e32 v44, v52, v53
	v_lshrrev_b32_e32 v54, 16, v22
	v_fmac_f16_e32 v38, 0xb8b4, v39
	v_fmac_f16_e32 v23, 0x38b4, v39
	v_add_f16_e32 v42, v43, v42
	v_pk_add_f16 v22, v22, v28
	v_fma_f16 v43, -0.5, v44, v54
	v_sub_f16_e32 v28, v28, v30
	v_add_f16_e32 v50, v41, v33
	v_sub_f16_e32 v33, v41, v33
	v_fmac_f16_e32 v38, 0x34f2, v37
	v_fmamk_f16 v41, v39, 0x3b9c, v40
	v_fmac_f16_e32 v23, 0x34f2, v37
	v_fmac_f16_e32 v40, 0xbb9c, v39
	v_pk_add_f16 v22, v22, v24
	v_fmamk_f16 v37, v28, 0x3b9c, v43
	v_sub_f16_e32 v24, v24, v26
	v_sub_f16_e32 v39, v29, v52
	;; [unrolled: 1-line block ×3, first 2 shown]
	v_fmac_f16_e32 v43, 0xbb9c, v28
	v_pk_add_f16 v22, v22, v26
	v_fmac_f16_e32 v37, 0x38b4, v24
	v_fmac_f16_e32 v41, 0xb8b4, v51
	v_add_f16_e32 v26, v39, v44
	v_add_f16_e32 v39, v29, v46
	v_fmac_f16_e32 v43, 0xb8b4, v24
	v_pk_add_f16 v22, v22, v30
	v_lshrrev_b32_e32 v30, 16, v17
	v_fmac_f16_e32 v37, 0x34f2, v26
	v_fmac_f16_e32 v54, -0.5, v39
	v_fmac_f16_e32 v43, 0x34f2, v26
	v_add_f16_e32 v26, v13, v11
	v_lshrrev_b32_e32 v39, 16, v9
	v_fmac_f16_e32 v40, 0x38b4, v51
	v_sub_f16_e32 v29, v52, v29
	v_sub_f16_e32 v44, v53, v46
	v_fma_f16 v26, -0.5, v26, v15
	v_sub_f16_e32 v46, v30, v39
	v_lshrrev_b32_e32 v51, 16, v13
	v_lshrrev_b32_e32 v52, 16, v11
	v_fmac_f16_e32 v41, 0x34f2, v42
	v_fmac_f16_e32 v40, 0x34f2, v42
	v_fmamk_f16 v42, v24, 0xbb9c, v54
	v_add_f16_e32 v29, v29, v44
	v_fmac_f16_e32 v54, 0x3b9c, v24
	v_fmamk_f16 v24, v46, 0xbb9c, v26
	v_sub_f16_e32 v44, v51, v52
	v_sub_f16_e32 v53, v9, v11
	;; [unrolled: 1-line block ×3, first 2 shown]
	v_fmac_f16_e32 v26, 0x3b9c, v46
	v_add_f16_e32 v56, v17, v9
	v_fmac_f16_e32 v42, 0x38b4, v28
	v_fmac_f16_e32 v54, 0xb8b4, v28
	;; [unrolled: 1-line block ×3, first 2 shown]
	v_add_f16_e32 v28, v55, v53
	v_fmac_f16_e32 v26, 0x38b4, v44
	v_fma_f16 v53, -0.5, v56, v15
	v_fmac_f16_e32 v42, 0x34f2, v29
	v_fmac_f16_e32 v54, 0x34f2, v29
	;; [unrolled: 1-line block ×4, first 2 shown]
	v_fmamk_f16 v28, v44, 0x3b9c, v53
	v_sub_f16_e32 v29, v11, v9
	v_sub_f16_e32 v55, v13, v17
	v_fmac_f16_e32 v53, 0xbb9c, v44
	v_add_f16_e32 v44, v51, v52
	v_lshrrev_b32_e32 v56, 16, v15
	v_fmac_f16_e32 v28, 0xb8b4, v46
	v_add_f16_e32 v29, v55, v29
	v_fmac_f16_e32 v53, 0x38b4, v46
	v_add_f16_e32 v46, v30, v39
	v_fma_f16 v44, -0.5, v44, v56
	v_sub_f16_e32 v55, v17, v9
	v_fmac_f16_e32 v28, 0x34f2, v29
	v_sub_f16_e32 v57, v13, v11
	v_fmac_f16_e32 v56, -0.5, v46
	v_fmac_f16_e32 v53, 0x34f2, v29
	v_fmamk_f16 v29, v55, 0x3b9c, v44
	v_sub_f16_e32 v46, v30, v51
	v_sub_f16_e32 v58, v39, v52
	v_fmamk_f16 v59, v57, 0xbb9c, v56
	v_sub_f16_e32 v30, v51, v30
	v_sub_f16_e32 v39, v52, v39
	v_fmac_f16_e32 v56, 0x3b9c, v57
	v_fmac_f16_e32 v29, 0x38b4, v57
	v_add_f16_e32 v46, v46, v58
	v_pk_add_f16 v15, v15, v17
	v_add_f16_e32 v30, v30, v39
	v_fmac_f16_e32 v56, 0xb8b4, v55
	v_fmac_f16_e32 v59, 0x38b4, v55
	;; [unrolled: 1-line block ×4, first 2 shown]
	v_pk_add_f16 v13, v15, v13
	v_fmac_f16_e32 v56, 0x34f2, v30
	v_fmac_f16_e32 v59, 0x34f2, v30
	v_mul_f16_e32 v15, 0xb8b4, v29
	v_fmac_f16_e32 v44, 0xb8b4, v57
	v_pk_add_f16 v11, v13, v11
	v_mul_f16_e32 v30, 0xbb9c, v56
	v_mul_f16_e32 v17, 0xbb9c, v59
	v_fmac_f16_e32 v15, 0x3a79, v24
	v_mul_f16_e32 v24, 0x38b4, v24
	v_fmac_f16_e32 v44, 0x34f2, v46
	v_fmac_f16_e32 v30, 0xb4f2, v53
	v_mul_f16_e32 v51, 0x34f2, v59
	v_fmac_f16_e32 v17, 0x34f2, v28
	v_fmac_f16_e32 v24, 0x3a79, v29
	v_mul_f16_e32 v13, 0xb8b4, v44
	v_pk_add_f16 v9, v11, v9
	v_add_f16_e32 v11, v38, v15
	v_add_f16_e32 v46, v40, v30
	v_fmac_f16_e32 v51, 0x3b9c, v28
	v_add_f16_e32 v28, v37, v24
	v_sub_f16_e32 v30, v40, v30
	v_and_b32_e32 v40, 0xff, v0
	v_mul_f16_e32 v52, 0xb4f2, v56
	v_mul_f16_e32 v44, 0xba79, v44
	v_fmac_f16_e32 v13, 0xba79, v26
	v_pack_b32_f16 v11, v11, v28
	v_mul_lo_u16 v28, 0xcd, v40
	v_fmac_f16_e32 v52, 0x3b9c, v53
	v_fmac_f16_e32 v44, 0x38b4, v26
	v_add_f16_e32 v39, v41, v17
	v_add_f16_e32 v55, v23, v13
	v_pk_add_f16 v26, v22, v9
	v_sub_f16_e32 v17, v41, v17
	v_sub_f16_e32 v13, v23, v13
	;; [unrolled: 1-line block ×4, first 2 shown]
	v_pk_add_f16 v22, v22, v9 neg_lo:[0,1] neg_hi:[0,1]
	v_lshrrev_b16 v9, 11, v28
	v_add_f16_e32 v29, v42, v51
	v_add_f16_e32 v53, v54, v52
	;; [unrolled: 1-line block ×3, first 2 shown]
	v_sub_f16_e32 v15, v38, v15
	v_sub_f16_e32 v37, v54, v52
	;; [unrolled: 1-line block ×3, first 2 shown]
	v_pack_b32_f16 v17, v17, v24
	v_mul_lo_u16 v24, v9, 10
	v_pack_b32_f16 v40, v46, v53
	v_pack_b32_f16 v29, v39, v29
	;; [unrolled: 1-line block ×6, first 2 shown]
	ds_store_2addr_b32 v5, v26, v11 offset1:1
	ds_store_2addr_b32 v5, v29, v40 offset0:2 offset1:3
	ds_store_2addr_b32 v5, v39, v22 offset0:4 offset1:5
	;; [unrolled: 1-line block ×4, first 2 shown]
	v_sub_nc_u16 v11, v0, v24
	v_pk_add_f16 v45, v21, v10
	v_pk_add_f16 v17, v21, v10 neg_lo:[0,1] neg_hi:[0,1]
	v_pack_b32_f16 v5, v25, v47
	v_pack_b32_f16 v13, v34, v49
	v_and_b32_e32 v10, 0xff, v11
	v_pack_b32_f16 v15, v31, v48
	v_pack_b32_f16 v21, v35, v50
	;; [unrolled: 1-line block ×5, first 2 shown]
	v_mul_u32_u24_e32 v18, 9, v10
	v_pack_b32_f16 v14, v27, v33
	ds_store_2addr_b32 v20, v45, v5 offset1:1
	ds_store_2addr_b32 v20, v15, v13 offset0:2 offset1:3
	ds_store_2addr_b32 v20, v21, v17 offset0:4 offset1:5
	;; [unrolled: 1-line block ×4, first 2 shown]
	v_and_b32_e32 v11, 0xffff, v4
	global_wb scope:SCOPE_SE
	s_wait_dscnt 0x0
	v_lshlrev_b32_e32 v5, 2, v18
	s_barrier_signal -1
	s_barrier_wait -1
	v_mul_u32_u24_e32 v11, 0xcccd, v11
	global_inv scope:SCOPE_SE
	s_clause 0x2
	global_load_b128 v[26:29], v5, s[4:5]
	global_load_b128 v[30:33], v5, s[4:5] offset:16
	global_load_b32 v56, v5, s[4:5] offset:32
	v_lshrrev_b32_e32 v22, 19, v11
	v_add_nc_u32_e32 v15, 0x1580, v19
	v_add_nc_u32_e32 v17, 0x2200, v19
	v_lshl_add_u32 v13, v6, 2, 0
	v_add_nc_u32_e32 v16, 0x2800, v19
	v_mul_lo_u16 v11, v22, 10
	v_lshl_add_u32 v14, v8, 2, 0
	v_add_nc_u32_e32 v21, 0x2e80, v19
	v_add_nc_u32_e32 v18, 0x3500, v19
	;; [unrolled: 1-line block ×3, first 2 shown]
	v_sub_nc_u16 v11, v4, v11
	v_and_b32_e32 v9, 0xffff, v9
	v_lshlrev_b32_e32 v10, 2, v10
	v_mul_u32_u24_e32 v22, 0x190, v22
	s_delay_alu instid0(VALU_DEP_4) | instskip(NEXT) | instid1(VALU_DEP_4)
	v_and_b32_e32 v23, 0xffff, v11
	v_mul_u32_u24_e32 v9, 0x190, v9
	s_delay_alu instid0(VALU_DEP_2) | instskip(NEXT) | instid1(VALU_DEP_2)
	v_mul_u32_u24_e32 v11, 9, v23
	v_add3_u32 v9, 0, v9, v10
	v_lshlrev_b32_e32 v23, 2, v23
	s_delay_alu instid0(VALU_DEP_3)
	v_lshlrev_b32_e32 v5, 2, v11
	s_clause 0x2
	global_load_b128 v[34:37], v5, s[4:5]
	global_load_b128 v[38:41], v5, s[4:5] offset:16
	global_load_b32 v57, v5, s[4:5] offset:32
	v_add_nc_u32_e32 v11, 0x1c00, v19
	v_mad_i32_i24 v5, 0xffffffdc, v4, v20
	ds_load_b32 v58, v19
	ds_load_2addr_b32 v[42:43], v15 offset0:24 offset1:224
	ds_load_2addr_b32 v[44:45], v11 offset0:8 offset1:208
	;; [unrolled: 1-line block ×6, first 2 shown]
	ds_load_b32 v24, v5
	ds_load_b32 v59, v19 offset:2400
	ds_load_2addr_b32 v[54:55], v12 offset0:40 offset1:240
	ds_load_b32 v60, v13
	ds_load_b32 v61, v14
	ds_load_b32 v62, v19 offset:15200
	global_wb scope:SCOPE_SE
	s_wait_loadcnt_dscnt 0x0
	s_barrier_signal -1
	s_barrier_wait -1
	global_inv scope:SCOPE_SE
	v_lshrrev_b32_e32 v66, 16, v47
	v_lshrrev_b32_e32 v67, 16, v49
	;; [unrolled: 1-line block ×24, first 2 shown]
	s_delay_alu instid0(VALU_DEP_4) | instskip(SKIP_2) | instid1(VALU_DEP_3)
	v_mul_f16_e32 v84, v78, v79
	v_mul_f16_e32 v78, v78, v61
	;; [unrolled: 1-line block ×3, first 2 shown]
	v_fmac_f16_e32 v84, v26, v61
	v_mul_f16_e32 v61, v81, v60
	s_delay_alu instid0(VALU_DEP_4)
	v_fma_f16 v78, v26, v79, -v78
	v_mul_f16_e32 v79, v82, v86
	v_mul_f16_e32 v26, v82, v55
	v_fmac_f16_e32 v87, v27, v60
	v_fma_f16 v60, v27, v83, -v61
	v_mul_f16_e32 v61, v64, v85
	v_fmac_f16_e32 v79, v28, v55
	v_mul_f16_e32 v27, v43, v85
	v_fma_f16 v55, v28, v86, -v26
	v_lshrrev_b32_e32 v26, 16, v30
	v_lshrrev_b32_e32 v28, 16, v31
	v_fmac_f16_e32 v61, v43, v29
	v_fma_f16 v43, v64, v29, -v27
	v_lshrrev_b32_e32 v27, 16, v32
	v_mul_f16_e32 v64, v65, v26
	v_mul_f16_e32 v26, v45, v26
	;; [unrolled: 1-line block ×3, first 2 shown]
	v_lshrrev_b32_e32 v29, 16, v33
	v_mul_f16_e32 v28, v47, v28
	v_fmac_f16_e32 v64, v45, v30
	v_fma_f16 v45, v65, v30, -v26
	v_fmac_f16_e32 v81, v47, v31
	v_mul_f16_e32 v47, v67, v27
	v_fma_f16 v65, v66, v31, -v28
	v_mul_f16_e32 v26, v49, v27
	v_lshrrev_b32_e32 v27, 16, v56
	v_mul_f16_e32 v66, v68, v29
	v_mul_f16_e32 v28, v51, v29
	v_fmac_f16_e32 v47, v49, v32
	v_fma_f16 v49, v67, v32, -v26
	v_mul_f16_e32 v67, v69, v27
	v_fmac_f16_e32 v66, v51, v33
	v_mul_f16_e32 v26, v53, v27
	v_fma_f16 v33, v68, v33, -v28
	v_lshrrev_b32_e32 v27, 16, v34
	v_lshrrev_b32_e32 v28, 16, v35
	v_fmac_f16_e32 v67, v53, v56
	v_fma_f16 v51, v69, v56, -v26
	v_lshrrev_b32_e32 v29, 16, v36
	v_mul_f16_e32 v26, v70, v27
	v_mul_f16_e32 v27, v59, v27
	;; [unrolled: 1-line block ×4, first 2 shown]
	v_lshrrev_b32_e32 v30, 16, v37
	v_fmac_f16_e32 v26, v59, v34
	v_fma_f16 v27, v70, v34, -v27
	v_mul_f16_e32 v31, v72, v29
	v_fma_f16 v34, v71, v35, -v28
	v_mul_f16_e32 v28, v42, v29
	v_mul_f16_e32 v29, v44, v30
	v_fmac_f16_e32 v53, v54, v35
	v_mul_f16_e32 v35, v73, v30
	v_lshrrev_b32_e32 v54, 16, v38
	v_fmac_f16_e32 v31, v42, v36
	v_fma_f16 v30, v72, v36, -v28
	v_fma_f16 v36, v73, v37, -v29
	v_lshrrev_b32_e32 v29, 16, v40
	v_mul_f16_e32 v32, v74, v54
	v_lshrrev_b32_e32 v28, 16, v39
	v_mul_f16_e32 v42, v46, v54
	v_fmac_f16_e32 v35, v44, v37
	v_mul_f16_e32 v54, v76, v29
	v_mul_f16_e32 v29, v50, v29
	v_lshrrev_b32_e32 v37, 16, v41
	v_fmac_f16_e32 v32, v46, v38
	v_mul_f16_e32 v44, v75, v28
	v_mul_f16_e32 v46, v48, v28
	v_fmac_f16_e32 v54, v50, v40
	v_fma_f16 v29, v76, v40, -v29
	v_add_f16_e32 v40, v61, v81
	v_fma_f16 v28, v74, v38, -v42
	v_fmac_f16_e32 v44, v48, v39
	v_fma_f16 v38, v75, v39, -v46
	v_lshrrev_b32_e32 v39, 16, v57
	v_mul_f16_e32 v42, v77, v37
	v_mul_f16_e32 v37, v52, v37
	v_add_f16_e32 v48, v58, v87
	v_fma_f16 v40, -0.5, v40, v58
	v_sub_f16_e32 v50, v60, v33
	v_add_f16_e32 v68, v87, v66
	v_mul_f16_e32 v46, v80, v39
	v_fmac_f16_e32 v42, v52, v41
	v_fma_f16 v37, v77, v41, -v37
	v_add_f16_e32 v41, v48, v61
	v_fmamk_f16 v48, v50, 0xbb9c, v40
	v_sub_f16_e32 v52, v43, v65
	v_sub_f16_e32 v56, v87, v61
	;; [unrolled: 1-line block ×3, first 2 shown]
	v_mul_f16_e32 v39, v62, v39
	v_fmac_f16_e32 v58, -0.5, v68
	v_fmac_f16_e32 v40, 0x3b9c, v50
	v_add_f16_e32 v68, v63, v60
	v_fmac_f16_e32 v46, v62, v57
	v_add_f16_e32 v41, v41, v81
	;; [unrolled: 2-line block ×3, first 2 shown]
	v_fma_f16 v39, v80, v57, -v39
	v_fmamk_f16 v57, v52, 0x3b9c, v58
	v_sub_f16_e32 v59, v61, v87
	v_sub_f16_e32 v62, v81, v66
	v_fmac_f16_e32 v40, 0x38b4, v52
	v_add_f16_e32 v69, v43, v65
	v_fmac_f16_e32 v58, 0xbb9c, v52
	v_add_f16_e32 v52, v68, v43
	v_add_f16_e32 v41, v41, v66
	v_fmac_f16_e32 v48, 0x34f2, v56
	v_fmac_f16_e32 v57, 0xb8b4, v50
	v_add_f16_e32 v59, v59, v62
	v_fma_f16 v62, -0.5, v69, v63
	v_sub_f16_e32 v66, v87, v66
	v_fmac_f16_e32 v40, 0x34f2, v56
	v_fmac_f16_e32 v58, 0x38b4, v50
	v_add_f16_e32 v50, v52, v65
	v_add_f16_e32 v56, v60, v33
	v_fmamk_f16 v52, v66, 0x3b9c, v62
	v_sub_f16_e32 v61, v61, v81
	v_sub_f16_e32 v68, v60, v43
	;; [unrolled: 1-line block ×3, first 2 shown]
	v_fmac_f16_e32 v63, -0.5, v56
	v_add_f16_e32 v50, v50, v33
	v_fmac_f16_e32 v62, 0xbb9c, v66
	v_sub_f16_e32 v43, v43, v60
	v_sub_f16_e32 v33, v65, v33
	v_add_f16_e32 v60, v84, v79
	v_fmac_f16_e32 v57, 0x34f2, v59
	v_fmac_f16_e32 v58, 0x34f2, v59
	;; [unrolled: 1-line block ×3, first 2 shown]
	v_add_f16_e32 v56, v68, v69
	v_fmamk_f16 v59, v61, 0xbb9c, v63
	v_fmac_f16_e32 v62, 0xb8b4, v61
	v_add_f16_e32 v33, v43, v33
	v_fmac_f16_e32 v63, 0x3b9c, v61
	v_add_f16_e32 v43, v60, v64
	v_add_f16_e32 v60, v64, v47
	v_fmac_f16_e32 v52, 0x34f2, v56
	v_fmac_f16_e32 v59, 0x38b4, v66
	v_fmac_f16_e32 v62, 0x34f2, v56
	v_fmac_f16_e32 v63, 0xb8b4, v66
	v_add_f16_e32 v43, v43, v47
	v_fma_f16 v56, -0.5, v60, v84
	v_add_f16_e32 v60, v79, v67
	v_sub_f16_e32 v61, v55, v51
	v_fmac_f16_e32 v59, 0x34f2, v33
	v_fmac_f16_e32 v63, 0x34f2, v33
	v_add_f16_e32 v33, v43, v67
	v_sub_f16_e32 v43, v45, v49
	v_fmac_f16_e32 v84, -0.5, v60
	v_fmamk_f16 v60, v61, 0xbb9c, v56
	v_sub_f16_e32 v65, v79, v64
	v_sub_f16_e32 v66, v67, v47
	v_fmac_f16_e32 v56, 0x3b9c, v61
	v_fmamk_f16 v68, v43, 0x3b9c, v84
	v_sub_f16_e32 v69, v64, v79
	v_sub_f16_e32 v70, v47, v67
	v_fmac_f16_e32 v60, 0xb8b4, v43
	v_add_f16_e32 v65, v65, v66
	v_fmac_f16_e32 v56, 0x38b4, v43
	v_fmac_f16_e32 v84, 0xbb9c, v43
	v_add_f16_e32 v43, v45, v49
	v_fmac_f16_e32 v68, 0xb8b4, v61
	v_add_f16_e32 v66, v69, v70
	v_fmac_f16_e32 v60, 0x34f2, v65
	v_fmac_f16_e32 v56, 0x34f2, v65
	;; [unrolled: 1-line block ×3, first 2 shown]
	v_add_f16_e32 v61, v55, v51
	v_fma_f16 v43, -0.5, v43, v78
	v_sub_f16_e32 v65, v79, v67
	v_fmac_f16_e32 v68, 0x34f2, v66
	v_add_f16_e32 v67, v78, v55
	v_sub_f16_e32 v47, v64, v47
	v_fmac_f16_e32 v78, -0.5, v61
	v_fmac_f16_e32 v84, 0x34f2, v66
	v_fmamk_f16 v61, v65, 0x3b9c, v43
	v_sub_f16_e32 v64, v55, v45
	v_sub_f16_e32 v66, v51, v49
	v_fmamk_f16 v69, v47, 0xbb9c, v78
	v_sub_f16_e32 v55, v45, v55
	v_sub_f16_e32 v70, v49, v51
	v_fmac_f16_e32 v78, 0x3b9c, v47
	v_fmac_f16_e32 v61, 0x38b4, v47
	v_add_f16_e32 v64, v64, v66
	v_fmac_f16_e32 v43, 0xbb9c, v65
	v_fmac_f16_e32 v69, 0x38b4, v65
	v_add_f16_e32 v55, v55, v70
	v_fmac_f16_e32 v78, 0xb8b4, v65
	v_add_f16_e32 v45, v67, v45
	v_fmac_f16_e32 v61, 0x34f2, v64
	v_fmac_f16_e32 v43, 0xb8b4, v47
	;; [unrolled: 1-line block ×4, first 2 shown]
	v_add_f16_e32 v45, v45, v49
	v_mul_f16_e32 v47, 0xb8b4, v61
	v_fmac_f16_e32 v43, 0x34f2, v64
	v_mul_f16_e32 v49, 0xbb9c, v69
	v_mul_f16_e32 v55, 0xbb9c, v78
	v_add_f16_e32 v45, v45, v51
	v_fmac_f16_e32 v47, 0x3a79, v60
	v_mul_f16_e32 v51, 0xb8b4, v43
	v_mul_f16_e32 v61, 0x3a79, v61
	v_mul_f16_e32 v69, 0x34f2, v69
	v_fmac_f16_e32 v49, 0x34f2, v68
	v_fmac_f16_e32 v55, 0xb4f2, v84
	v_add_f16_e32 v64, v41, v33
	v_add_f16_e32 v65, v48, v47
	v_fmac_f16_e32 v51, 0xba79, v56
	v_mul_f16_e32 v70, 0xb4f2, v78
	v_mul_f16_e32 v43, 0xba79, v43
	v_fmac_f16_e32 v61, 0x38b4, v60
	v_fmac_f16_e32 v69, 0x3b9c, v68
	v_sub_f16_e32 v33, v41, v33
	v_sub_f16_e32 v41, v48, v47
	v_add_f16_e32 v47, v35, v44
	v_add_f16_e32 v66, v57, v49
	;; [unrolled: 1-line block ×4, first 2 shown]
	v_fmac_f16_e32 v70, 0x3b9c, v84
	v_fmac_f16_e32 v43, 0x38b4, v56
	v_add_f16_e32 v56, v50, v45
	v_add_f16_e32 v60, v52, v61
	;; [unrolled: 1-line block ×3, first 2 shown]
	v_sub_f16_e32 v48, v57, v49
	v_sub_f16_e32 v49, v58, v55
	;; [unrolled: 1-line block ×3, first 2 shown]
	v_add_f16_e32 v51, v24, v53
	v_fma_f16 v47, -0.5, v47, v24
	v_sub_f16_e32 v55, v34, v37
	v_sub_f16_e32 v45, v50, v45
	;; [unrolled: 1-line block ×4, first 2 shown]
	v_add_f16_e32 v69, v53, v42
	v_add_f16_e32 v72, v63, v70
	v_add_f16_e32 v51, v51, v35
	v_fmamk_f16 v57, v55, 0xbb9c, v47
	v_sub_f16_e32 v58, v36, v38
	v_sub_f16_e32 v59, v53, v35
	;; [unrolled: 1-line block ×4, first 2 shown]
	v_fmac_f16_e32 v24, -0.5, v69
	v_fmac_f16_e32 v47, 0x3b9c, v55
	v_add_f16_e32 v70, v25, v34
	v_add_f16_e32 v73, v62, v43
	;; [unrolled: 1-line block ×3, first 2 shown]
	v_fmac_f16_e32 v57, 0xb8b4, v58
	v_add_f16_e32 v59, v59, v61
	v_sub_f16_e32 v43, v62, v43
	v_fmamk_f16 v61, v58, 0x3b9c, v24
	v_sub_f16_e32 v62, v35, v53
	v_sub_f16_e32 v69, v44, v42
	v_fmac_f16_e32 v47, 0x38b4, v58
	v_add_f16_e32 v74, v36, v38
	v_fmac_f16_e32 v24, 0xbb9c, v58
	v_add_f16_e32 v58, v70, v36
	v_add_f16_e32 v51, v51, v42
	;; [unrolled: 1-line block ×3, first 2 shown]
	v_fma_f16 v69, -0.5, v74, v25
	v_sub_f16_e32 v42, v53, v42
	v_add_f16_e32 v53, v58, v38
	v_add_f16_e32 v58, v34, v37
	v_fmac_f16_e32 v57, 0x34f2, v59
	v_fmac_f16_e32 v61, 0xb8b4, v55
	v_fmac_f16_e32 v47, 0x34f2, v59
	v_fmac_f16_e32 v24, 0x38b4, v55
	v_fmamk_f16 v55, v42, 0x3b9c, v69
	v_sub_f16_e32 v35, v35, v44
	v_sub_f16_e32 v44, v34, v36
	;; [unrolled: 1-line block ×3, first 2 shown]
	v_fmac_f16_e32 v25, -0.5, v58
	v_add_f16_e32 v53, v53, v37
	v_fmac_f16_e32 v69, 0xbb9c, v42
	v_sub_f16_e32 v34, v36, v34
	v_sub_f16_e32 v36, v38, v37
	v_add_f16_e32 v37, v26, v31
	v_fmac_f16_e32 v55, 0x38b4, v35
	v_fmamk_f16 v58, v35, 0xbb9c, v25
	v_fmac_f16_e32 v69, 0xb8b4, v35
	v_fmac_f16_e32 v25, 0x3b9c, v35
	v_add_f16_e32 v35, v37, v32
	v_add_f16_e32 v34, v34, v36
	v_fmac_f16_e32 v58, 0x38b4, v42
	v_add_f16_e32 v36, v32, v54
	v_fmac_f16_e32 v25, 0xb8b4, v42
	v_add_f16_e32 v35, v35, v54
	v_add_f16_e32 v37, v31, v46
	;; [unrolled: 1-line block ×3, first 2 shown]
	v_fmac_f16_e32 v58, 0x34f2, v34
	v_fma_f16 v36, -0.5, v36, v26
	v_sub_f16_e32 v38, v30, v39
	v_fmac_f16_e32 v25, 0x34f2, v34
	v_add_f16_e32 v34, v35, v46
	v_sub_f16_e32 v35, v28, v29
	v_fmac_f16_e32 v26, -0.5, v37
	v_fmac_f16_e32 v55, 0x34f2, v44
	v_fmac_f16_e32 v69, 0x34f2, v44
	v_fmamk_f16 v37, v38, 0xbb9c, v36
	v_sub_f16_e32 v42, v31, v32
	v_sub_f16_e32 v44, v46, v54
	v_fmac_f16_e32 v36, 0x3b9c, v38
	v_fmamk_f16 v59, v35, 0x3b9c, v26
	v_fmac_f16_e32 v26, 0xbb9c, v35
	v_fmac_f16_e32 v61, 0x34f2, v62
	v_fmac_f16_e32 v24, 0x34f2, v62
	v_sub_f16_e32 v62, v32, v31
	v_sub_f16_e32 v70, v54, v46
	v_fmac_f16_e32 v37, 0xb8b4, v35
	v_add_f16_e32 v42, v42, v44
	v_fmac_f16_e32 v36, 0x38b4, v35
	v_fmac_f16_e32 v59, 0xb8b4, v38
	v_add_f16_e32 v35, v28, v29
	v_fmac_f16_e32 v26, 0x38b4, v38
	v_add_f16_e32 v38, v30, v39
	v_add_f16_e32 v44, v62, v70
	v_fmac_f16_e32 v37, 0x34f2, v42
	v_fmac_f16_e32 v36, 0x34f2, v42
	v_fma_f16 v35, -0.5, v35, v27
	v_sub_f16_e32 v31, v31, v46
	v_add_f16_e32 v42, v27, v30
	v_sub_f16_e32 v32, v32, v54
	v_fmac_f16_e32 v27, -0.5, v38
	v_fmac_f16_e32 v59, 0x34f2, v44
	v_fmac_f16_e32 v26, 0x34f2, v44
	v_fmamk_f16 v38, v31, 0x3b9c, v35
	v_sub_f16_e32 v44, v30, v28
	v_sub_f16_e32 v46, v39, v29
	v_fmamk_f16 v54, v32, 0xbb9c, v27
	v_sub_f16_e32 v30, v28, v30
	v_sub_f16_e32 v62, v29, v39
	v_fmac_f16_e32 v27, 0x3b9c, v32
	v_fmac_f16_e32 v35, 0xbb9c, v31
	v_add_f16_e32 v44, v44, v46
	v_fmac_f16_e32 v54, 0x38b4, v31
	v_add_f16_e32 v30, v30, v62
	v_fmac_f16_e32 v27, 0xb8b4, v31
	v_fmac_f16_e32 v35, 0xb8b4, v32
	;; [unrolled: 1-line block ×3, first 2 shown]
	v_add_f16_e32 v28, v42, v28
	v_fmac_f16_e32 v54, 0x34f2, v30
	v_fmac_f16_e32 v27, 0x34f2, v30
	v_fmac_f16_e32 v35, 0x34f2, v44
	v_fmac_f16_e32 v38, 0x34f2, v44
	v_add_f16_e32 v28, v28, v29
	v_mul_f16_e32 v30, 0xbb9c, v54
	v_mul_f16_e32 v31, 0xbb9c, v27
	;; [unrolled: 1-line block ×6, first 2 shown]
	v_fmac_f16_e32 v31, 0xb4f2, v26
	v_fmac_f16_e32 v32, 0xba79, v36
	v_fmac_f16_e32 v27, 0x3b9c, v26
	v_fmac_f16_e32 v35, 0x38b4, v36
	v_mul_f16_e32 v29, 0xb8b4, v38
	v_mul_f16_e32 v38, 0x3a79, v38
	v_fmac_f16_e32 v30, 0x34f2, v59
	v_fmac_f16_e32 v54, 0x3b9c, v59
	v_add_f16_e32 v59, v25, v27
	v_add_f16_e32 v70, v69, v35
	v_sub_f16_e32 v25, v25, v27
	v_sub_f16_e32 v27, v69, v35
	v_pack_b32_f16 v10, v64, v56
	v_pack_b32_f16 v35, v65, v60
	v_add_f16_e32 v28, v28, v39
	v_add_f16_e32 v39, v51, v34
	;; [unrolled: 1-line block ×4, first 2 shown]
	v_sub_f16_e32 v34, v51, v34
	v_sub_f16_e32 v24, v24, v31
	;; [unrolled: 1-line block ×3, first 2 shown]
	v_pack_b32_f16 v47, v66, v68
	v_pack_b32_f16 v51, v67, v72
	v_fmac_f16_e32 v29, 0x3a79, v37
	v_fmac_f16_e32 v38, 0x38b4, v37
	ds_store_2addr_b32 v9, v10, v35 offset1:10
	ds_store_2addr_b32 v9, v47, v51 offset0:20 offset1:30
	v_pack_b32_f16 v10, v71, v73
	v_pack_b32_f16 v33, v33, v45
	v_add_f16_e32 v42, v57, v29
	v_add_f16_e32 v26, v53, v28
	;; [unrolled: 1-line block ×3, first 2 shown]
	v_pack_b32_f16 v35, v41, v50
	v_pack_b32_f16 v41, v48, v52
	ds_store_2addr_b32 v9, v10, v33 offset0:40 offset1:50
	v_add_nc_u32_e32 v10, 0xffffff9c, v0
	v_pack_b32_f16 v45, v49, v63
	v_pack_b32_f16 v40, v40, v43
	v_add3_u32 v43, 0, v22, v23
	v_pack_b32_f16 v22, v39, v26
	v_pack_b32_f16 v23, v42, v36
	ds_store_2addr_b32 v9, v35, v41 offset0:60 offset1:70
	ds_store_2addr_b32 v9, v45, v40 offset0:80 offset1:90
	ds_store_2addr_b32 v43, v22, v23 offset1:10
	s_wait_alu 0xf1ff
	v_cndmask_b32_e64 v22, v10, v0, s0
	v_mov_b32_e32 v10, 0
	v_add_f16_e32 v44, v61, v30
	v_add_f16_e32 v37, v58, v54
	v_sub_f16_e32 v28, v53, v28
	v_mul_i32_i24_e32 v9, 9, v22
	v_sub_f16_e32 v29, v57, v29
	v_sub_f16_e32 v30, v61, v30
	;; [unrolled: 1-line block ×4, first 2 shown]
	v_pack_b32_f16 v25, v24, v25
	v_lshlrev_b64_e32 v[23:24], 2, v[9:10]
	v_pack_b32_f16 v26, v44, v37
	v_pack_b32_f16 v33, v46, v59
	;; [unrolled: 1-line block ×6, first 2 shown]
	v_lshrrev_b16 v9, 2, v4
	v_pack_b32_f16 v27, v31, v27
	v_add_co_u32 v34, s0, s4, v23
	ds_store_2addr_b32 v43, v26, v33 offset0:20 offset1:30
	ds_store_2addr_b32 v43, v35, v28 offset0:40 offset1:50
	;; [unrolled: 1-line block ×4, first 2 shown]
	s_wait_alu 0xf1ff
	v_add_co_ci_u32_e64 v35, s0, s5, v24, s0
	v_and_b32_e32 v9, 0xffff, v9
	global_wb scope:SCOPE_SE
	s_wait_dscnt 0x0
	s_barrier_signal -1
	s_barrier_wait -1
	global_inv scope:SCOPE_SE
	s_clause 0x1
	global_load_b128 v[26:29], v[34:35], off offset:360
	global_load_b128 v[30:33], v[34:35], off offset:376
	v_mul_u32_u24_e32 v9, 0x147b, v9
	global_load_b32 v56, v[34:35], off offset:392
	v_cmp_lt_u32_e64 s0, 0x63, v0
	v_lshlrev_b32_e32 v22, 2, v22
	v_lshrrev_b32_e32 v9, 17, v9
	s_delay_alu instid0(VALU_DEP_1) | instskip(SKIP_1) | instid1(VALU_DEP_2)
	v_mul_lo_u16 v23, 0x64, v9
	v_mul_u32_u24_e32 v9, 0xfa0, v9
	v_sub_nc_u16 v23, v4, v23
	s_delay_alu instid0(VALU_DEP_1) | instskip(NEXT) | instid1(VALU_DEP_1)
	v_and_b32_e32 v23, 0xffff, v23
	v_mul_u32_u24_e32 v24, 9, v23
	v_lshlrev_b32_e32 v23, 2, v23
	s_delay_alu instid0(VALU_DEP_2)
	v_lshlrev_b32_e32 v24, 2, v24
	s_clause 0x2
	global_load_b128 v[34:37], v24, s[4:5] offset:360
	global_load_b128 v[38:41], v24, s[4:5] offset:376
	global_load_b32 v57, v24, s[4:5] offset:392
	ds_load_b32 v58, v19
	ds_load_2addr_b32 v[42:43], v11 offset0:8 offset1:208
	ds_load_2addr_b32 v[44:45], v17 offset0:24 offset1:224
	;; [unrolled: 1-line block ×5, first 2 shown]
	ds_load_b32 v25, v5
	ds_load_b32 v59, v19 offset:2400
	ds_load_2addr_b32 v[52:53], v12 offset0:40 offset1:240
	ds_load_2addr_b32 v[54:55], v15 offset0:24 offset1:224
	ds_load_b32 v60, v14
	ds_load_b32 v61, v13
	ds_load_b32 v62, v19 offset:15200
	global_wb scope:SCOPE_SE
	s_wait_loadcnt_dscnt 0x0
	s_barrier_signal -1
	s_barrier_wait -1
	global_inv scope:SCOPE_SE
	v_add3_u32 v9, 0, v9, v23
	v_lshrrev_b32_e32 v63, 16, v58
	v_lshrrev_b32_e32 v64, 16, v43
	;; [unrolled: 1-line block ×22, first 2 shown]
	s_delay_alu instid0(VALU_DEP_4) | instskip(SKIP_2) | instid1(VALU_DEP_3)
	v_mul_f16_e32 v81, v75, v76
	v_mul_f16_e32 v75, v75, v60
	;; [unrolled: 1-line block ×3, first 2 shown]
	v_fmac_f16_e32 v81, v26, v60
	v_lshrrev_b32_e32 v60, 16, v53
	s_delay_alu instid0(VALU_DEP_4)
	v_fma_f16 v75, v26, v76, -v75
	v_mul_f16_e32 v26, v80, v61
	v_lshrrev_b32_e32 v76, 16, v55
	v_fmac_f16_e32 v85, v27, v61
	v_mul_f16_e32 v80, v82, v60
	v_mul_f16_e32 v61, v82, v53
	v_fma_f16 v82, v27, v83, -v26
	v_mul_f16_e32 v83, v84, v76
	v_mul_f16_e32 v26, v84, v55
	v_fmac_f16_e32 v80, v28, v53
	v_fma_f16 v53, v28, v60, -v61
	v_lshrrev_b32_e32 v27, 16, v30
	v_lshrrev_b32_e32 v28, 16, v31
	v_fmac_f16_e32 v83, v29, v55
	v_fma_f16 v55, v29, v76, -v26
	v_lshrrev_b32_e32 v26, 16, v32
	v_mul_f16_e32 v60, v64, v27
	v_mul_f16_e32 v27, v43, v27
	;; [unrolled: 1-line block ×3, first 2 shown]
	v_lshrrev_b32_e32 v29, 16, v33
	v_mul_f16_e32 v28, v45, v28
	v_fmac_f16_e32 v60, v43, v30
	v_fma_f16 v43, v64, v30, -v27
	v_fmac_f16_e32 v61, v45, v31
	v_mul_f16_e32 v45, v66, v26
	v_fma_f16 v64, v65, v31, -v28
	v_mul_f16_e32 v26, v47, v26
	v_lshrrev_b32_e32 v27, 16, v56
	v_mul_f16_e32 v65, v67, v29
	v_mul_f16_e32 v28, v49, v29
	v_fmac_f16_e32 v45, v47, v32
	v_fma_f16 v47, v66, v32, -v26
	v_mul_f16_e32 v66, v68, v27
	v_fmac_f16_e32 v65, v49, v33
	v_mul_f16_e32 v26, v51, v27
	v_fma_f16 v33, v67, v33, -v28
	v_lshrrev_b32_e32 v27, 16, v34
	v_lshrrev_b32_e32 v28, 16, v35
	v_fmac_f16_e32 v66, v51, v56
	v_fma_f16 v49, v68, v56, -v26
	v_lshrrev_b32_e32 v29, 16, v36
	v_mul_f16_e32 v26, v69, v27
	v_mul_f16_e32 v27, v59, v27
	;; [unrolled: 1-line block ×4, first 2 shown]
	v_lshrrev_b32_e32 v30, 16, v37
	v_fmac_f16_e32 v26, v59, v34
	v_fma_f16 v27, v69, v34, -v27
	v_mul_f16_e32 v31, v71, v29
	v_fma_f16 v34, v70, v35, -v28
	v_mul_f16_e32 v28, v54, v29
	v_mul_f16_e32 v29, v42, v30
	v_fmac_f16_e32 v51, v52, v35
	v_mul_f16_e32 v35, v72, v30
	v_lshrrev_b32_e32 v52, 16, v38
	v_fmac_f16_e32 v31, v54, v36
	v_fma_f16 v30, v71, v36, -v28
	v_fma_f16 v36, v72, v37, -v29
	v_lshrrev_b32_e32 v29, 16, v40
	v_mul_f16_e32 v32, v73, v52
	v_lshrrev_b32_e32 v28, 16, v39
	v_fmac_f16_e32 v35, v42, v37
	v_lshrrev_b32_e32 v37, 16, v41
	v_mul_f16_e32 v54, v77, v29
	v_mul_f16_e32 v29, v48, v29
	;; [unrolled: 1-line block ×3, first 2 shown]
	v_fmac_f16_e32 v32, v44, v38
	v_mul_f16_e32 v44, v74, v28
	v_mul_f16_e32 v52, v46, v28
	v_fmac_f16_e32 v54, v48, v40
	v_fma_f16 v29, v77, v40, -v29
	v_add_f16_e32 v40, v83, v61
	v_fma_f16 v28, v73, v38, -v42
	v_fmac_f16_e32 v44, v46, v39
	v_fma_f16 v38, v74, v39, -v52
	v_lshrrev_b32_e32 v39, 16, v57
	v_mul_f16_e32 v42, v78, v37
	v_mul_f16_e32 v37, v50, v37
	v_add_f16_e32 v48, v58, v85
	v_fma_f16 v40, -0.5, v40, v58
	v_sub_f16_e32 v52, v82, v33
	v_add_f16_e32 v67, v85, v65
	v_mul_f16_e32 v46, v79, v39
	v_fmac_f16_e32 v42, v50, v41
	v_fma_f16 v37, v78, v41, -v37
	v_add_f16_e32 v41, v48, v83
	v_fmamk_f16 v48, v52, 0xbb9c, v40
	v_sub_f16_e32 v50, v55, v64
	v_sub_f16_e32 v56, v85, v83
	;; [unrolled: 1-line block ×3, first 2 shown]
	v_mul_f16_e32 v39, v62, v39
	v_fmac_f16_e32 v58, -0.5, v67
	v_fmac_f16_e32 v40, 0x3b9c, v52
	v_add_f16_e32 v67, v63, v82
	v_fmac_f16_e32 v46, v62, v57
	v_add_f16_e32 v41, v41, v61
	;; [unrolled: 2-line block ×3, first 2 shown]
	v_fma_f16 v39, v79, v57, -v39
	v_fmamk_f16 v57, v50, 0x3b9c, v58
	v_sub_f16_e32 v59, v83, v85
	v_sub_f16_e32 v62, v61, v65
	v_fmac_f16_e32 v40, 0x38b4, v50
	v_add_f16_e32 v68, v55, v64
	v_fmac_f16_e32 v58, 0xbb9c, v50
	v_add_f16_e32 v50, v67, v55
	v_add_f16_e32 v41, v41, v65
	v_fmac_f16_e32 v48, 0x34f2, v56
	v_add_f16_e32 v59, v59, v62
	v_fma_f16 v62, -0.5, v68, v63
	v_sub_f16_e32 v65, v85, v65
	v_fmac_f16_e32 v40, 0x34f2, v56
	v_add_f16_e32 v50, v50, v64
	v_add_f16_e32 v56, v82, v33
	v_fmac_f16_e32 v57, 0xb8b4, v52
	v_fmac_f16_e32 v58, 0x38b4, v52
	v_fmamk_f16 v52, v65, 0x3b9c, v62
	v_sub_f16_e32 v61, v83, v61
	v_sub_f16_e32 v67, v82, v55
	;; [unrolled: 1-line block ×3, first 2 shown]
	v_fmac_f16_e32 v63, -0.5, v56
	v_add_f16_e32 v50, v50, v33
	v_fmac_f16_e32 v62, 0xbb9c, v65
	v_sub_f16_e32 v55, v55, v82
	v_sub_f16_e32 v33, v64, v33
	v_add_f16_e32 v64, v81, v80
	v_fmac_f16_e32 v57, 0x34f2, v59
	v_fmac_f16_e32 v58, 0x34f2, v59
	;; [unrolled: 1-line block ×3, first 2 shown]
	v_add_f16_e32 v56, v67, v68
	v_fmamk_f16 v59, v61, 0xbb9c, v63
	v_fmac_f16_e32 v62, 0xb8b4, v61
	v_add_f16_e32 v33, v55, v33
	v_fmac_f16_e32 v63, 0x3b9c, v61
	v_add_f16_e32 v55, v64, v60
	v_add_f16_e32 v61, v60, v45
	v_fmac_f16_e32 v52, 0x34f2, v56
	v_fmac_f16_e32 v59, 0x38b4, v65
	;; [unrolled: 1-line block ×4, first 2 shown]
	v_add_f16_e32 v55, v55, v45
	v_fma_f16 v56, -0.5, v61, v81
	v_add_f16_e32 v61, v80, v66
	v_sub_f16_e32 v64, v53, v49
	v_fmac_f16_e32 v59, 0x34f2, v33
	v_fmac_f16_e32 v63, 0x34f2, v33
	v_add_f16_e32 v33, v55, v66
	v_sub_f16_e32 v55, v43, v47
	v_fmac_f16_e32 v81, -0.5, v61
	v_fmamk_f16 v61, v64, 0xbb9c, v56
	v_sub_f16_e32 v65, v80, v60
	v_sub_f16_e32 v67, v66, v45
	v_fmac_f16_e32 v56, 0x3b9c, v64
	v_fmamk_f16 v68, v55, 0x3b9c, v81
	v_sub_f16_e32 v69, v60, v80
	v_sub_f16_e32 v70, v45, v66
	v_fmac_f16_e32 v61, 0xb8b4, v55
	v_add_f16_e32 v65, v65, v67
	v_fmac_f16_e32 v56, 0x38b4, v55
	v_fmac_f16_e32 v81, 0xbb9c, v55
	v_add_f16_e32 v55, v43, v47
	v_fmac_f16_e32 v68, 0xb8b4, v64
	v_add_f16_e32 v67, v69, v70
	v_fmac_f16_e32 v61, 0x34f2, v65
	v_fmac_f16_e32 v56, 0x34f2, v65
	;; [unrolled: 1-line block ×3, first 2 shown]
	v_add_f16_e32 v64, v53, v49
	v_fma_f16 v55, -0.5, v55, v75
	v_sub_f16_e32 v65, v80, v66
	v_fmac_f16_e32 v68, 0x34f2, v67
	v_add_f16_e32 v66, v75, v53
	v_sub_f16_e32 v45, v60, v45
	v_fmac_f16_e32 v75, -0.5, v64
	v_fmac_f16_e32 v81, 0x34f2, v67
	v_fmamk_f16 v60, v65, 0x3b9c, v55
	v_sub_f16_e32 v64, v53, v43
	v_sub_f16_e32 v67, v49, v47
	v_fmamk_f16 v69, v45, 0xbb9c, v75
	v_sub_f16_e32 v53, v43, v53
	v_sub_f16_e32 v70, v47, v49
	v_fmac_f16_e32 v75, 0x3b9c, v45
	v_fmac_f16_e32 v60, 0x38b4, v45
	v_add_f16_e32 v64, v64, v67
	v_fmac_f16_e32 v55, 0xbb9c, v65
	v_fmac_f16_e32 v69, 0x38b4, v65
	v_add_f16_e32 v53, v53, v70
	v_fmac_f16_e32 v75, 0xb8b4, v65
	v_add_f16_e32 v43, v66, v43
	v_fmac_f16_e32 v60, 0x34f2, v64
	v_fmac_f16_e32 v55, 0xb8b4, v45
	;; [unrolled: 1-line block ×4, first 2 shown]
	v_add_f16_e32 v43, v43, v47
	v_mul_f16_e32 v45, 0xb8b4, v60
	v_fmac_f16_e32 v55, 0x34f2, v64
	v_mul_f16_e32 v47, 0xbb9c, v69
	v_mul_f16_e32 v53, 0xbb9c, v75
	v_add_f16_e32 v43, v43, v49
	v_fmac_f16_e32 v45, 0x3a79, v61
	v_mul_f16_e32 v49, 0xb8b4, v55
	v_mul_f16_e32 v60, 0x3a79, v60
	;; [unrolled: 1-line block ×3, first 2 shown]
	v_fmac_f16_e32 v53, 0xb4f2, v81
	v_add_f16_e32 v64, v41, v33
	v_add_f16_e32 v65, v48, v45
	v_fmac_f16_e32 v49, 0xba79, v56
	v_mul_f16_e32 v70, 0xb4f2, v75
	v_mul_f16_e32 v55, 0xba79, v55
	v_fmac_f16_e32 v60, 0x38b4, v61
	v_fmac_f16_e32 v69, 0x3b9c, v68
	v_sub_f16_e32 v33, v41, v33
	v_sub_f16_e32 v41, v48, v45
	v_add_f16_e32 v45, v35, v44
	v_fmac_f16_e32 v47, 0x34f2, v68
	v_add_f16_e32 v67, v58, v53
	v_add_f16_e32 v71, v40, v49
	v_fmac_f16_e32 v70, 0x3b9c, v81
	v_fmac_f16_e32 v55, 0x38b4, v56
	v_add_f16_e32 v56, v50, v43
	v_add_f16_e32 v61, v52, v60
	;; [unrolled: 1-line block ×3, first 2 shown]
	v_sub_f16_e32 v48, v58, v53
	v_sub_f16_e32 v40, v40, v49
	v_add_f16_e32 v49, v25, v51
	v_fma_f16 v45, -0.5, v45, v25
	v_sub_f16_e32 v53, v34, v37
	v_sub_f16_e32 v43, v50, v43
	;; [unrolled: 1-line block ×4, first 2 shown]
	v_add_f16_e32 v69, v51, v42
	v_add_f16_e32 v66, v57, v47
	;; [unrolled: 1-line block ×3, first 2 shown]
	v_sub_f16_e32 v47, v57, v47
	v_add_f16_e32 v49, v49, v35
	v_fmamk_f16 v57, v53, 0xbb9c, v45
	v_sub_f16_e32 v58, v36, v38
	v_sub_f16_e32 v59, v51, v35
	;; [unrolled: 1-line block ×4, first 2 shown]
	v_fmac_f16_e32 v25, -0.5, v69
	v_fmac_f16_e32 v45, 0x3b9c, v53
	v_add_f16_e32 v70, v24, v34
	v_add_f16_e32 v73, v62, v55
	;; [unrolled: 1-line block ×3, first 2 shown]
	v_fmac_f16_e32 v57, 0xb8b4, v58
	v_add_f16_e32 v59, v59, v60
	v_sub_f16_e32 v55, v62, v55
	v_fmamk_f16 v60, v58, 0x3b9c, v25
	v_sub_f16_e32 v62, v35, v51
	v_sub_f16_e32 v69, v44, v42
	v_fmac_f16_e32 v45, 0x38b4, v58
	v_add_f16_e32 v74, v36, v38
	v_fmac_f16_e32 v25, 0xbb9c, v58
	v_add_f16_e32 v58, v70, v36
	v_add_f16_e32 v49, v49, v42
	;; [unrolled: 1-line block ×3, first 2 shown]
	v_fma_f16 v69, -0.5, v74, v24
	v_sub_f16_e32 v42, v51, v42
	v_add_f16_e32 v51, v58, v38
	v_add_f16_e32 v58, v34, v37
	v_fmac_f16_e32 v57, 0x34f2, v59
	v_fmac_f16_e32 v60, 0xb8b4, v53
	v_fmac_f16_e32 v45, 0x34f2, v59
	v_fmac_f16_e32 v25, 0x38b4, v53
	v_fmamk_f16 v53, v42, 0x3b9c, v69
	v_sub_f16_e32 v35, v35, v44
	v_sub_f16_e32 v44, v34, v36
	;; [unrolled: 1-line block ×3, first 2 shown]
	v_fmac_f16_e32 v24, -0.5, v58
	v_add_f16_e32 v51, v51, v37
	v_fmac_f16_e32 v69, 0xbb9c, v42
	v_sub_f16_e32 v34, v36, v34
	v_sub_f16_e32 v36, v38, v37
	v_add_f16_e32 v37, v26, v31
	v_fmac_f16_e32 v53, 0x38b4, v35
	v_fmamk_f16 v58, v35, 0xbb9c, v24
	v_fmac_f16_e32 v69, 0xb8b4, v35
	v_fmac_f16_e32 v24, 0x3b9c, v35
	v_add_f16_e32 v35, v37, v32
	v_add_f16_e32 v34, v34, v36
	v_fmac_f16_e32 v58, 0x38b4, v42
	v_add_f16_e32 v36, v32, v54
	v_fmac_f16_e32 v24, 0xb8b4, v42
	v_add_f16_e32 v35, v35, v54
	v_add_f16_e32 v37, v31, v46
	;; [unrolled: 1-line block ×3, first 2 shown]
	v_fmac_f16_e32 v58, 0x34f2, v34
	v_fma_f16 v36, -0.5, v36, v26
	v_sub_f16_e32 v38, v30, v39
	v_fmac_f16_e32 v24, 0x34f2, v34
	v_add_f16_e32 v34, v35, v46
	v_sub_f16_e32 v35, v28, v29
	v_fmac_f16_e32 v26, -0.5, v37
	v_fmac_f16_e32 v53, 0x34f2, v44
	v_fmac_f16_e32 v69, 0x34f2, v44
	v_fmamk_f16 v37, v38, 0xbb9c, v36
	v_sub_f16_e32 v42, v31, v32
	v_sub_f16_e32 v44, v46, v54
	v_fmac_f16_e32 v36, 0x3b9c, v38
	v_fmamk_f16 v59, v35, 0x3b9c, v26
	v_fmac_f16_e32 v26, 0xbb9c, v35
	v_fmac_f16_e32 v60, 0x34f2, v62
	;; [unrolled: 1-line block ×3, first 2 shown]
	v_sub_f16_e32 v62, v32, v31
	v_sub_f16_e32 v70, v54, v46
	v_fmac_f16_e32 v37, 0xb8b4, v35
	v_add_f16_e32 v42, v42, v44
	v_fmac_f16_e32 v36, 0x38b4, v35
	v_fmac_f16_e32 v59, 0xb8b4, v38
	v_add_f16_e32 v35, v28, v29
	v_fmac_f16_e32 v26, 0x38b4, v38
	v_add_f16_e32 v38, v30, v39
	v_add_f16_e32 v44, v62, v70
	v_fmac_f16_e32 v37, 0x34f2, v42
	v_fmac_f16_e32 v36, 0x34f2, v42
	v_fma_f16 v35, -0.5, v35, v27
	v_sub_f16_e32 v31, v31, v46
	v_add_f16_e32 v42, v27, v30
	v_sub_f16_e32 v32, v32, v54
	v_fmac_f16_e32 v27, -0.5, v38
	v_fmac_f16_e32 v59, 0x34f2, v44
	v_fmac_f16_e32 v26, 0x34f2, v44
	v_fmamk_f16 v38, v31, 0x3b9c, v35
	v_sub_f16_e32 v44, v30, v28
	v_sub_f16_e32 v46, v39, v29
	v_fmamk_f16 v54, v32, 0xbb9c, v27
	v_sub_f16_e32 v30, v28, v30
	v_sub_f16_e32 v62, v29, v39
	v_fmac_f16_e32 v27, 0x3b9c, v32
	v_fmac_f16_e32 v35, 0xbb9c, v31
	v_add_f16_e32 v44, v44, v46
	v_fmac_f16_e32 v38, 0x38b4, v32
	v_add_f16_e32 v30, v30, v62
	v_fmac_f16_e32 v27, 0xb8b4, v31
	v_fmac_f16_e32 v35, 0xb8b4, v32
	;; [unrolled: 1-line block ×3, first 2 shown]
	v_add_f16_e32 v28, v42, v28
	v_fmac_f16_e32 v38, 0x34f2, v44
	v_fmac_f16_e32 v27, 0x34f2, v30
	;; [unrolled: 1-line block ×4, first 2 shown]
	v_add_f16_e32 v28, v28, v29
	v_mul_f16_e32 v29, 0xb8b4, v38
	v_mul_f16_e32 v31, 0xbb9c, v27
	v_mul_f16_e32 v32, 0xb8b4, v35
	v_mul_f16_e32 v27, 0xb4f2, v27
	v_mul_f16_e32 v35, 0xba79, v35
	v_mul_f16_e32 v38, 0x3a79, v38
	v_fmac_f16_e32 v31, 0xb4f2, v26
	v_fmac_f16_e32 v32, 0xba79, v36
	v_mul_f16_e32 v30, 0xbb9c, v54
	v_mul_f16_e32 v54, 0x34f2, v54
	v_fmac_f16_e32 v27, 0x3b9c, v26
	v_add_f16_e32 v46, v25, v31
	v_add_f16_e32 v62, v45, v32
	v_fmac_f16_e32 v35, 0x38b4, v36
	v_sub_f16_e32 v25, v25, v31
	v_sub_f16_e32 v31, v45, v32
	s_wait_alu 0xf1ff
	v_cndmask_b32_e64 v32, 0, 0xfa0, s0
	v_add_f16_e32 v28, v28, v39
	v_fmac_f16_e32 v29, 0x3a79, v37
	v_fmac_f16_e32 v38, 0x38b4, v37
	;; [unrolled: 1-line block ×4, first 2 shown]
	v_add_f16_e32 v59, v24, v27
	v_add_f16_e32 v70, v69, v35
	v_sub_f16_e32 v24, v24, v27
	v_sub_f16_e32 v27, v69, v35
	v_add3_u32 v22, 0, v32, v22
	v_pack_b32_f16 v32, v64, v56
	v_pack_b32_f16 v35, v65, v61
	v_add_f16_e32 v39, v49, v34
	v_add_f16_e32 v42, v57, v29
	;; [unrolled: 1-line block ×6, first 2 shown]
	v_sub_f16_e32 v34, v49, v34
	ds_store_2addr_b32 v22, v32, v35 offset1:100
	v_pack_b32_f16 v32, v66, v68
	v_pack_b32_f16 v35, v67, v72
	v_add_nc_u32_e32 v49, 0x200, v22
	v_sub_f16_e32 v28, v51, v28
	v_pack_b32_f16 v51, v71, v73
	v_pack_b32_f16 v33, v33, v43
	v_add_nc_u32_e32 v43, 0x400, v22
	v_pack_b32_f16 v41, v41, v50
	v_pack_b32_f16 v47, v47, v52
	v_add_nc_u32_e32 v50, 0x800, v22
	;; [unrolled: 3-line block ×3, first 2 shown]
	v_pack_b32_f16 v23, v39, v26
	v_pack_b32_f16 v26, v42, v36
	ds_store_2addr_b32 v49, v32, v35 offset0:72 offset1:172
	ds_store_2addr_b32 v43, v51, v33 offset0:144 offset1:244
	;; [unrolled: 1-line block ×4, first 2 shown]
	ds_store_2addr_b32 v9, v23, v26 offset1:100
	v_pack_b32_f16 v22, v44, v37
	v_pack_b32_f16 v23, v46, v59
	v_add_nc_u32_e32 v26, 0x200, v9
	v_sub_f16_e32 v29, v57, v29
	v_sub_f16_e32 v30, v60, v30
	v_sub_f16_e32 v38, v53, v38
	v_sub_f16_e32 v45, v58, v54
	ds_store_2addr_b32 v26, v22, v23 offset0:72 offset1:172
	v_mul_u32_u24_e32 v22, 3, v0
	v_pack_b32_f16 v32, v62, v70
	v_pack_b32_f16 v28, v34, v28
	v_add_nc_u32_e32 v33, 0x400, v9
	v_pack_b32_f16 v29, v29, v38
	v_pack_b32_f16 v30, v30, v45
	v_add_nc_u32_e32 v34, 0x800, v9
	;; [unrolled: 3-line block ×3, first 2 shown]
	v_lshlrev_b32_e32 v22, 2, v22
	ds_store_2addr_b32 v33, v32, v28 offset0:144 offset1:244
	ds_store_2addr_b32 v34, v29, v30 offset0:88 offset1:188
	;; [unrolled: 1-line block ×3, first 2 shown]
	v_mul_i32_i24_e32 v9, 3, v4
	global_wb scope:SCOPE_SE
	s_wait_dscnt 0x0
	s_barrier_signal -1
	s_barrier_wait -1
	global_inv scope:SCOPE_SE
	global_load_b96 v[22:24], v22, s[4:5] offset:3960
	v_lshlrev_b64_e32 v[25:26], 2, v[9:10]
	v_mul_i32_i24_e32 v9, 3, v8
	s_delay_alu instid0(VALU_DEP_2) | instskip(SKIP_1) | instid1(VALU_DEP_3)
	v_add_co_u32 v25, s0, s4, v25
	s_wait_alu 0xf1ff
	v_add_co_ci_u32_e64 v26, s0, s5, v26, s0
	s_delay_alu instid0(VALU_DEP_3)
	v_lshlrev_b64_e32 v[28:29], 2, v[9:10]
	v_mul_i32_i24_e32 v9, 3, v7
	global_load_b96 v[25:27], v[25:26], off offset:3960
	v_add_co_u32 v28, s0, s4, v28
	s_wait_alu 0xf1ff
	v_add_co_ci_u32_e64 v29, s0, s5, v29, s0
	v_lshlrev_b64_e32 v[31:32], 2, v[9:10]
	v_mul_i32_i24_e32 v9, 3, v6
	global_load_b96 v[28:30], v[28:29], off offset:3960
	v_add_co_u32 v31, s0, s4, v31
	s_wait_alu 0xf1ff
	v_add_co_ci_u32_e64 v32, s0, s5, v32, s0
	v_lshlrev_b64_e32 v[34:35], 2, v[9:10]
	global_load_b96 v[31:33], v[31:32], off offset:3960
	v_add_co_u32 v34, s0, s4, v34
	s_wait_alu 0xf1ff
	v_add_co_ci_u32_e64 v35, s0, s5, v35, s0
	global_load_b96 v[34:36], v[34:35], off offset:3960
	ds_load_2addr_b32 v[37:38], v17 offset0:24 offset1:224
	ds_load_2addr_b32 v[39:40], v21 offset0:24 offset1:224
	;; [unrolled: 1-line block ×7, first 2 shown]
	v_lshl_add_u32 v15, v7, 2, 0
	ds_load_b32 v9, v13
	ds_load_b32 v16, v19 offset:15200
	ds_load_b32 v21, v14
	ds_load_b32 v47, v19
	;; [unrolled: 1-line block ×4, first 2 shown]
	global_wb scope:SCOPE_SE
	s_wait_loadcnt_dscnt 0x0
	s_barrier_signal -1
	s_barrier_wait -1
	global_inv scope:SCOPE_SE
	v_lshrrev_b32_e32 v50, 16, v37
	v_lshrrev_b32_e32 v68, 16, v39
	v_lshrrev_b32_e32 v51, 16, v40
	v_lshrrev_b32_e32 v52, 16, v41
	v_lshrrev_b32_e32 v53, 16, v38
	v_lshrrev_b32_e32 v62, 16, v46
	v_lshrrev_b32_e32 v60, 16, v11
	v_lshrrev_b32_e32 v54, 16, v17
	v_lshrrev_b32_e32 v55, 16, v42
	v_lshrrev_b32_e32 v56, 16, v43
	v_lshrrev_b32_e32 v57, 16, v18
	v_lshrrev_b32_e32 v58, 16, v45
	v_lshrrev_b32_e32 v63, 16, v44
	v_lshrrev_b32_e32 v64, 16, v16
	v_lshrrev_b32_e32 v59, 16, v22
	v_lshrrev_b32_e32 v61, 16, v23
	v_lshrrev_b32_e32 v67, 16, v24
	s_delay_alu instid0(VALU_DEP_3) | instskip(SKIP_1) | instid1(VALU_DEP_4)
	v_mul_f16_e32 v65, v59, v60
	v_mul_f16_e32 v59, v59, v11
	;; [unrolled: 1-line block ×3, first 2 shown]
	s_delay_alu instid0(VALU_DEP_3) | instskip(NEXT) | instid1(VALU_DEP_3)
	v_fmac_f16_e32 v65, v22, v11
	v_fma_f16 v11, v22, v60, -v59
	v_mul_f16_e32 v22, v61, v46
	s_delay_alu instid0(VALU_DEP_4)
	v_fmac_f16_e32 v66, v23, v46
	v_mul_f16_e32 v46, v67, v68
	v_lshrrev_b32_e32 v59, 16, v25
	v_lshrrev_b32_e32 v60, 16, v12
	v_mul_f16_e32 v61, v67, v39
	v_fma_f16 v22, v23, v62, -v22
	v_lshrrev_b32_e32 v23, 16, v26
	v_fmac_f16_e32 v46, v24, v39
	v_mul_f16_e32 v39, v59, v60
	v_fma_f16 v24, v24, v68, -v61
	v_mul_f16_e32 v59, v59, v12
	v_mul_f16_e32 v61, v50, v23
	v_lshrrev_b32_e32 v62, 16, v27
	v_fmac_f16_e32 v39, v25, v12
	v_mul_f16_e32 v12, v37, v23
	v_fma_f16 v23, v25, v60, -v59
	v_fmac_f16_e32 v61, v37, v26
	v_mul_f16_e32 v25, v51, v62
	v_lshrrev_b32_e32 v37, 16, v28
	v_fma_f16 v12, v50, v26, -v12
	v_mul_f16_e32 v26, v40, v62
	v_lshrrev_b32_e32 v50, 16, v29
	v_fmac_f16_e32 v25, v40, v27
	v_mul_f16_e32 v40, v52, v37
	v_mul_f16_e32 v37, v41, v37
	v_fma_f16 v26, v51, v27, -v26
	v_mul_f16_e32 v27, v53, v50
	v_lshrrev_b32_e32 v51, 16, v30
	v_fmac_f16_e32 v40, v41, v28
	v_fma_f16 v28, v52, v28, -v37
	v_mul_f16_e32 v37, v38, v50
	v_fmac_f16_e32 v27, v38, v29
	v_mul_f16_e32 v38, v54, v51
	v_lshrrev_b32_e32 v41, 16, v31
	v_mul_f16_e32 v50, v17, v51
	v_fma_f16 v29, v53, v29, -v37
	v_lshrrev_b32_e32 v37, 16, v32
	v_fmac_f16_e32 v38, v17, v30
	v_mul_f16_e32 v17, v55, v41
	v_fma_f16 v30, v54, v30, -v50
	v_mul_f16_e32 v41, v42, v41
	v_mul_f16_e32 v50, v56, v37
	v_lshrrev_b32_e32 v51, 16, v33
	v_mul_f16_e32 v37, v43, v37
	v_fmac_f16_e32 v17, v42, v31
	v_fma_f16 v31, v55, v31, -v41
	v_fmac_f16_e32 v50, v43, v32
	v_mul_f16_e32 v41, v57, v51
	v_lshrrev_b32_e32 v42, 16, v34
	v_fma_f16 v32, v56, v32, -v37
	v_lshrrev_b32_e32 v37, 16, v35
	v_mul_f16_e32 v43, v18, v51
	v_fmac_f16_e32 v41, v18, v33
	v_mul_f16_e32 v18, v58, v42
	v_mul_f16_e32 v42, v45, v42
	;; [unrolled: 1-line block ×3, first 2 shown]
	v_fma_f16 v33, v57, v33, -v43
	v_lshrrev_b32_e32 v43, 16, v36
	v_fmac_f16_e32 v18, v45, v34
	v_mul_f16_e32 v37, v44, v37
	v_fmac_f16_e32 v51, v44, v35
	v_sub_f16_e32 v44, v47, v66
	v_sub_f16_e32 v45, v65, v46
	v_fma_f16 v34, v58, v34, -v42
	v_lshrrev_b32_e32 v42, 16, v47
	v_mul_f16_e32 v46, v64, v43
	v_fma_f16 v47, v47, 2.0, -v44
	v_fma_f16 v52, v65, 2.0, -v45
	v_mul_f16_e32 v43, v16, v43
	v_sub_f16_e32 v22, v42, v22
	v_sub_f16_e32 v24, v11, v24
	v_fma_f16 v35, v63, v35, -v37
	v_sub_f16_e32 v37, v47, v52
	v_fmac_f16_e32 v46, v16, v36
	v_fma_f16 v16, v64, v36, -v43
	v_lshrrev_b32_e32 v36, 16, v48
	v_lshrrev_b32_e32 v52, 16, v21
	v_fma_f16 v42, v42, 2.0, -v22
	v_fma_f16 v11, v11, 2.0, -v24
	;; [unrolled: 1-line block ×3, first 2 shown]
	v_sub_f16_e32 v47, v48, v61
	v_sub_f16_e32 v25, v39, v25
	;; [unrolled: 1-line block ×4, first 2 shown]
	v_lshrrev_b32_e32 v53, 16, v49
	v_sub_f16_e32 v27, v21, v27
	v_sub_f16_e32 v38, v40, v38
	;; [unrolled: 1-line block ×4, first 2 shown]
	v_lshrrev_b32_e32 v54, 16, v9
	v_sub_f16_e32 v11, v42, v11
	v_fma_f16 v48, v48, 2.0, -v47
	v_fma_f16 v39, v39, 2.0, -v25
	;; [unrolled: 1-line block ×4, first 2 shown]
	v_sub_f16_e32 v50, v49, v50
	v_sub_f16_e32 v41, v17, v41
	;; [unrolled: 1-line block ×4, first 2 shown]
	v_add_f16_e32 v24, v44, v24
	v_sub_f16_e32 v45, v22, v45
	v_fma_f16 v21, v21, 2.0, -v27
	v_fma_f16 v40, v40, 2.0, -v38
	;; [unrolled: 1-line block ×4, first 2 shown]
	v_sub_f16_e32 v51, v9, v51
	v_sub_f16_e32 v35, v54, v35
	;; [unrolled: 1-line block ×4, first 2 shown]
	v_fma_f16 v42, v42, 2.0, -v11
	v_sub_f16_e32 v39, v48, v39
	v_sub_f16_e32 v23, v36, v23
	v_fma_f16 v49, v49, 2.0, -v50
	v_fma_f16 v17, v17, 2.0, -v41
	;; [unrolled: 1-line block ×6, first 2 shown]
	v_add_f16_e32 v26, v47, v26
	v_sub_f16_e32 v25, v12, v25
	v_sub_f16_e32 v40, v21, v40
	;; [unrolled: 1-line block ×3, first 2 shown]
	v_fma_f16 v9, v9, 2.0, -v51
	v_fma_f16 v54, v54, 2.0, -v35
	;; [unrolled: 1-line block ×6, first 2 shown]
	v_add_f16_e32 v30, v27, v30
	v_sub_f16_e32 v38, v29, v38
	v_sub_f16_e32 v17, v49, v17
	;; [unrolled: 1-line block ×3, first 2 shown]
	v_pack_b32_f16 v42, v43, v42
	v_fma_f16 v47, v47, 2.0, -v26
	v_fma_f16 v12, v12, 2.0, -v25
	v_add_f16_e32 v33, v50, v33
	v_sub_f16_e32 v41, v32, v41
	v_pack_b32_f16 v22, v44, v22
	v_pack_b32_f16 v11, v37, v11
	;; [unrolled: 1-line block ×3, first 2 shown]
	v_fma_f16 v21, v21, 2.0, -v40
	v_fma_f16 v52, v52, 2.0, -v28
	v_sub_f16_e32 v18, v9, v18
	v_sub_f16_e32 v34, v54, v34
	v_fma_f16 v27, v27, 2.0, -v30
	v_fma_f16 v29, v29, 2.0, -v38
	v_fma_f16 v49, v49, 2.0, -v17
	v_fma_f16 v53, v53, 2.0, -v31
	v_add_f16_e32 v16, v51, v16
	v_sub_f16_e32 v46, v35, v46
	ds_store_b32 v19, v42
	ds_store_b32 v19, v22 offset:4000
	ds_store_b32 v19, v11 offset:8000
	;; [unrolled: 1-line block ×3, first 2 shown]
	v_pack_b32_f16 v11, v48, v36
	v_fma_f16 v50, v50, 2.0, -v33
	v_fma_f16 v32, v32, 2.0, -v41
	v_pack_b32_f16 v12, v47, v12
	v_pack_b32_f16 v22, v39, v23
	;; [unrolled: 1-line block ×3, first 2 shown]
	v_fma_f16 v9, v9, 2.0, -v18
	v_fma_f16 v54, v54, 2.0, -v34
	v_pack_b32_f16 v21, v21, v52
	v_fma_f16 v51, v51, 2.0, -v16
	v_fma_f16 v35, v35, 2.0, -v46
	v_pack_b32_f16 v24, v27, v29
	v_pack_b32_f16 v25, v40, v28
	v_pack_b32_f16 v26, v30, v38
	ds_store_b32 v5, v11
	ds_store_b32 v5, v12 offset:4000
	ds_store_b32 v5, v22 offset:8000
	;; [unrolled: 1-line block ×3, first 2 shown]
	ds_store_b32 v14, v21
	ds_store_b32 v14, v24 offset:4000
	ds_store_b32 v14, v25 offset:8000
	;; [unrolled: 1-line block ×3, first 2 shown]
	v_pack_b32_f16 v5, v49, v53
	v_pack_b32_f16 v11, v50, v32
	v_pack_b32_f16 v12, v17, v31
	v_pack_b32_f16 v17, v33, v41
	v_pack_b32_f16 v9, v9, v54
	v_pack_b32_f16 v21, v51, v35
	v_pack_b32_f16 v18, v18, v34
	v_pack_b32_f16 v16, v16, v46
	ds_store_b32 v15, v5
	ds_store_b32 v15, v11 offset:4000
	ds_store_b32 v15, v12 offset:8000
	;; [unrolled: 1-line block ×3, first 2 shown]
	ds_store_b32 v13, v9
	ds_store_b32 v13, v21 offset:4000
	ds_store_b32 v13, v18 offset:8000
	;; [unrolled: 1-line block ×3, first 2 shown]
	global_wb scope:SCOPE_SE
	s_wait_dscnt 0x0
	s_barrier_signal -1
	s_barrier_wait -1
	global_inv scope:SCOPE_SE
	ds_load_b32 v5, v19
	v_sub_nc_u32_e32 v16, 0, v1
                                        ; implicit-def: $vgpr21
                                        ; implicit-def: $vgpr18
                                        ; implicit-def: $vgpr17
                                        ; implicit-def: $vgpr11_vgpr12
	v_cmpx_ne_u32_e32 0, v0
	s_wait_alu 0xfffe
	s_xor_b32 s1, exec_lo, s1
	s_cbranch_execz .LBB0_15
; %bb.14:
	v_mov_b32_e32 v1, v10
	s_delay_alu instid0(VALU_DEP_1) | instskip(NEXT) | instid1(VALU_DEP_1)
	v_lshlrev_b64_e32 v[9:10], 2, v[0:1]
	v_add_co_u32 v9, s0, s4, v9
	s_wait_alu 0xf1ff
	s_delay_alu instid0(VALU_DEP_2)
	v_add_co_ci_u32_e64 v10, s0, s5, v10, s0
	global_load_b32 v9, v[9:10], off offset:15960
	ds_load_b32 v10, v16 offset:16000
	s_wait_dscnt 0x0
	v_pk_add_f16 v11, v5, v10 neg_lo:[0,1] neg_hi:[0,1]
	v_pk_add_f16 v5, v10, v5
	s_delay_alu instid0(VALU_DEP_1) | instskip(SKIP_1) | instid1(VALU_DEP_2)
	v_bfi_b32 v10, 0xffff, v11, v5
	v_bfi_b32 v5, 0xffff, v5, v11
	v_pk_mul_f16 v10, v10, 0.5 op_sel_hi:[1,0]
	s_delay_alu instid0(VALU_DEP_2) | instskip(SKIP_1) | instid1(VALU_DEP_2)
	v_pk_mul_f16 v12, v5, 0.5 op_sel_hi:[1,0]
	s_wait_loadcnt 0x0
	v_pk_mul_f16 v11, v9, v10 op_sel:[1,0]
	v_pk_mul_f16 v9, v9, v10 op_sel_hi:[0,1]
	s_delay_alu instid0(VALU_DEP_3) | instskip(NEXT) | instid1(VALU_DEP_3)
	v_lshrrev_b32_e32 v10, 16, v12
	v_pk_fma_f16 v5, v5, 0.5, v11 op_sel_hi:[1,0,1]
	v_lshrrev_b32_e32 v17, 16, v11
	v_sub_f16_e32 v11, v12, v11
	v_lshrrev_b32_e32 v12, 16, v9
	s_delay_alu instid0(VALU_DEP_4) | instskip(SKIP_2) | instid1(VALU_DEP_4)
	v_pk_add_f16 v21, v5, v9 op_sel:[0,1] op_sel_hi:[1,0]
	v_pk_add_f16 v5, v5, v9 op_sel:[0,1] op_sel_hi:[1,0] neg_lo:[0,1] neg_hi:[0,1]
	v_sub_f16_e32 v10, v17, v10
	v_sub_f16_e32 v18, v11, v12
	v_dual_mov_b32 v12, v1 :: v_dual_mov_b32 v11, v0
	s_delay_alu instid0(VALU_DEP_4) | instskip(NEXT) | instid1(VALU_DEP_4)
	v_bfi_b32 v21, 0xffff, v21, v5
	v_sub_f16_e32 v17, v10, v9
                                        ; implicit-def: $vgpr5
.LBB0_15:
	s_wait_alu 0xfffe
	s_or_saveexec_b32 s0, s1
	v_mul_i32_i24_e32 v1, 0xffffffdc, v4
	s_wait_alu 0xfffe
	s_xor_b32 exec_lo, exec_lo, s0
	s_cbranch_execz .LBB0_17
; %bb.16:
	s_wait_dscnt 0x0
	v_lshrrev_b32_e32 v11, 16, v5
	v_mov_b32_e32 v17, 0
	v_alignbit_b32 v10, s0, v5, 16
	s_delay_alu instid0(VALU_DEP_3) | instskip(SKIP_4) | instid1(VALU_DEP_1)
	v_sub_f16_e32 v18, v5, v11
	v_mov_b32_e32 v11, 0
	v_mov_b32_e32 v12, 0
	ds_load_u16 v9, v17 offset:8002
	v_pk_add_f16 v10, v10, v5
	v_pack_b32_f16 v21, v10, 0
	s_wait_dscnt 0x0
	v_xor_b32_e32 v5, 0x8000, v9
	ds_store_b16 v17, v5 offset:8002
.LBB0_17:
	s_or_b32 exec_lo, exec_lo, s0
	s_wait_dscnt 0x0
	v_mov_b32_e32 v5, 0
	v_add_nc_u32_e32 v1, v20, v1
	s_delay_alu instid0(VALU_DEP_2) | instskip(NEXT) | instid1(VALU_DEP_1)
	v_lshlrev_b64_e32 v[9:10], 2, v[4:5]
	v_add_co_u32 v9, s0, s4, v9
	s_wait_alu 0xf1ff
	s_delay_alu instid0(VALU_DEP_2) | instskip(SKIP_2) | instid1(VALU_DEP_1)
	v_add_co_ci_u32_e64 v10, s0, s5, v10, s0
	global_load_b32 v10, v[9:10], off offset:15960
	v_mov_b32_e32 v9, v5
	v_lshlrev_b64_e32 v[8:9], 2, v[8:9]
	s_delay_alu instid0(VALU_DEP_1) | instskip(SKIP_1) | instid1(VALU_DEP_2)
	v_add_co_u32 v8, s0, s4, v8
	s_wait_alu 0xf1ff
	v_add_co_ci_u32_e64 v9, s0, s5, v9, s0
	global_load_b32 v9, v[8:9], off offset:15960
	v_mov_b32_e32 v8, v5
	s_delay_alu instid0(VALU_DEP_1) | instskip(NEXT) | instid1(VALU_DEP_1)
	v_lshlrev_b64_e32 v[7:8], 2, v[7:8]
	v_add_co_u32 v7, s0, s4, v7
	s_wait_alu 0xf1ff
	s_delay_alu instid0(VALU_DEP_2) | instskip(SKIP_2) | instid1(VALU_DEP_1)
	v_add_co_ci_u32_e64 v8, s0, s5, v8, s0
	global_load_b32 v8, v[7:8], off offset:15960
	v_mov_b32_e32 v7, v5
	v_lshlrev_b64_e32 v[4:5], 2, v[6:7]
	s_delay_alu instid0(VALU_DEP_1) | instskip(SKIP_1) | instid1(VALU_DEP_2)
	v_add_co_u32 v4, s0, s4, v4
	s_wait_alu 0xf1ff
	v_add_co_ci_u32_e64 v5, s0, s5, v5, s0
	s_add_nc_u64 s[0:1], s[4:5], 0x3e58
	global_load_b32 v22, v[4:5], off offset:15960
	v_lshlrev_b64_e32 v[4:5], 2, v[11:12]
	s_wait_alu 0xfffe
	s_delay_alu instid0(VALU_DEP_1) | instskip(SKIP_1) | instid1(VALU_DEP_2)
	v_add_co_u32 v6, s0, s0, v4
	s_wait_alu 0xf1ff
	v_add_co_ci_u32_e64 v7, s0, s1, v5, s0
	global_load_b32 v11, v[6:7], off offset:4000
	ds_store_b16 v16, v17 offset:16002
	ds_store_b32 v19, v21
	ds_store_b16 v16, v18 offset:16000
	ds_load_b32 v12, v16 offset:15200
	ds_load_b32 v17, v1
	global_load_b32 v18, v[6:7], off offset:4800
	s_wait_dscnt 0x0
	v_pk_add_f16 v20, v17, v12 neg_lo:[0,1] neg_hi:[0,1]
	v_pk_add_f16 v12, v17, v12
	s_delay_alu instid0(VALU_DEP_1) | instskip(SKIP_1) | instid1(VALU_DEP_2)
	v_bfi_b32 v17, 0xffff, v20, v12
	v_bfi_b32 v12, 0xffff, v12, v20
	v_pk_mul_f16 v17, v17, 0.5 op_sel_hi:[1,0]
	s_delay_alu instid0(VALU_DEP_2) | instskip(SKIP_1) | instid1(VALU_DEP_1)
	v_pk_mul_f16 v12, v12, 0.5 op_sel_hi:[1,0]
	s_wait_loadcnt 0x5
	v_pk_fma_f16 v20, v10, v17, v12 op_sel:[1,0,0]
	v_pk_mul_f16 v21, v10, v17 op_sel_hi:[0,1]
	v_pk_fma_f16 v23, v10, v17, v12 op_sel:[1,0,0] neg_lo:[1,0,0] neg_hi:[1,0,0]
	v_pk_fma_f16 v10, v10, v17, v12 op_sel:[1,0,0] neg_lo:[0,0,1] neg_hi:[0,0,1]
	s_delay_alu instid0(VALU_DEP_3) | instskip(SKIP_1) | instid1(VALU_DEP_4)
	v_pk_add_f16 v12, v20, v21 op_sel:[0,1] op_sel_hi:[1,0]
	v_pk_add_f16 v17, v20, v21 op_sel:[0,1] op_sel_hi:[1,0] neg_lo:[0,1] neg_hi:[0,1]
	v_pk_add_f16 v20, v23, v21 op_sel:[0,1] op_sel_hi:[1,0] neg_lo:[0,1] neg_hi:[0,1]
	s_delay_alu instid0(VALU_DEP_4) | instskip(NEXT) | instid1(VALU_DEP_3)
	v_pk_add_f16 v10, v10, v21 op_sel:[0,1] op_sel_hi:[1,0] neg_lo:[0,1] neg_hi:[0,1]
	v_bfi_b32 v12, 0xffff, v12, v17
	s_delay_alu instid0(VALU_DEP_2)
	v_bfi_b32 v10, 0xffff, v20, v10
	ds_store_b32 v1, v12
	ds_store_b32 v16, v10 offset:15200
	ds_load_b32 v1, v14
	ds_load_b32 v10, v16 offset:14400
	global_load_b32 v12, v[6:7], off offset:5600
	s_wait_dscnt 0x0
	v_pk_add_f16 v17, v1, v10 neg_lo:[0,1] neg_hi:[0,1]
	v_pk_add_f16 v1, v1, v10
	s_delay_alu instid0(VALU_DEP_1)
	v_bfi_b32 v10, 0xffff, v17, v1
	v_bfi_b32 v1, 0xffff, v1, v17
	s_clause 0x1
	global_load_b32 v17, v[6:7], off offset:6400
	global_load_b32 v6, v[6:7], off offset:7200
	v_pk_mul_f16 v10, v10, 0.5 op_sel_hi:[1,0]
	v_pk_mul_f16 v1, v1, 0.5 op_sel_hi:[1,0]
	s_wait_loadcnt 0x7
	s_delay_alu instid0(VALU_DEP_2) | instskip(NEXT) | instid1(VALU_DEP_2)
	v_pk_mul_f16 v20, v9, v10 op_sel_hi:[0,1]
	v_pk_fma_f16 v7, v9, v10, v1 op_sel:[1,0,0]
	v_pk_fma_f16 v21, v9, v10, v1 op_sel:[1,0,0] neg_lo:[1,0,0] neg_hi:[1,0,0]
	v_pk_fma_f16 v1, v9, v10, v1 op_sel:[1,0,0] neg_lo:[0,0,1] neg_hi:[0,0,1]
	s_delay_alu instid0(VALU_DEP_3) | instskip(SKIP_1) | instid1(VALU_DEP_4)
	v_pk_add_f16 v9, v7, v20 op_sel:[0,1] op_sel_hi:[1,0]
	v_pk_add_f16 v7, v7, v20 op_sel:[0,1] op_sel_hi:[1,0] neg_lo:[0,1] neg_hi:[0,1]
	v_pk_add_f16 v10, v21, v20 op_sel:[0,1] op_sel_hi:[1,0] neg_lo:[0,1] neg_hi:[0,1]
	s_delay_alu instid0(VALU_DEP_4) | instskip(NEXT) | instid1(VALU_DEP_3)
	v_pk_add_f16 v1, v1, v20 op_sel:[0,1] op_sel_hi:[1,0] neg_lo:[0,1] neg_hi:[0,1]
	v_bfi_b32 v7, 0xffff, v9, v7
	s_delay_alu instid0(VALU_DEP_2)
	v_bfi_b32 v1, 0xffff, v10, v1
	ds_store_b32 v14, v7
	ds_store_b32 v16, v1 offset:14400
	ds_load_b32 v1, v15
	ds_load_b32 v7, v16 offset:13600
	s_wait_dscnt 0x0
	v_pk_add_f16 v9, v1, v7 neg_lo:[0,1] neg_hi:[0,1]
	v_pk_add_f16 v1, v1, v7
	s_delay_alu instid0(VALU_DEP_1) | instskip(SKIP_1) | instid1(VALU_DEP_2)
	v_bfi_b32 v7, 0xffff, v9, v1
	v_bfi_b32 v1, 0xffff, v1, v9
	v_pk_mul_f16 v7, v7, 0.5 op_sel_hi:[1,0]
	s_delay_alu instid0(VALU_DEP_2) | instskip(SKIP_1) | instid1(VALU_DEP_2)
	v_pk_mul_f16 v1, v1, 0.5 op_sel_hi:[1,0]
	s_wait_loadcnt 0x6
	v_pk_mul_f16 v10, v8, v7 op_sel_hi:[0,1]
	s_delay_alu instid0(VALU_DEP_2) | instskip(SKIP_2) | instid1(VALU_DEP_3)
	v_pk_fma_f16 v9, v8, v7, v1 op_sel:[1,0,0]
	v_pk_fma_f16 v14, v8, v7, v1 op_sel:[1,0,0] neg_lo:[1,0,0] neg_hi:[1,0,0]
	v_pk_fma_f16 v1, v8, v7, v1 op_sel:[1,0,0] neg_lo:[0,0,1] neg_hi:[0,0,1]
	v_pk_add_f16 v7, v9, v10 op_sel:[0,1] op_sel_hi:[1,0]
	v_pk_add_f16 v8, v9, v10 op_sel:[0,1] op_sel_hi:[1,0] neg_lo:[0,1] neg_hi:[0,1]
	s_delay_alu instid0(VALU_DEP_4) | instskip(NEXT) | instid1(VALU_DEP_4)
	v_pk_add_f16 v9, v14, v10 op_sel:[0,1] op_sel_hi:[1,0] neg_lo:[0,1] neg_hi:[0,1]
	v_pk_add_f16 v1, v1, v10 op_sel:[0,1] op_sel_hi:[1,0] neg_lo:[0,1] neg_hi:[0,1]
	s_delay_alu instid0(VALU_DEP_3) | instskip(NEXT) | instid1(VALU_DEP_2)
	v_bfi_b32 v7, 0xffff, v7, v8
	v_bfi_b32 v1, 0xffff, v9, v1
	ds_store_b32 v15, v7
	ds_store_b32 v16, v1 offset:13600
	ds_load_b32 v1, v13
	ds_load_b32 v7, v16 offset:12800
	s_wait_dscnt 0x0
	v_pk_add_f16 v8, v1, v7 neg_lo:[0,1] neg_hi:[0,1]
	v_pk_add_f16 v1, v1, v7
	s_delay_alu instid0(VALU_DEP_1) | instskip(SKIP_1) | instid1(VALU_DEP_2)
	v_bfi_b32 v7, 0xffff, v8, v1
	v_bfi_b32 v1, 0xffff, v1, v8
	v_pk_mul_f16 v7, v7, 0.5 op_sel_hi:[1,0]
	s_delay_alu instid0(VALU_DEP_2) | instskip(SKIP_1) | instid1(VALU_DEP_2)
	v_pk_mul_f16 v1, v1, 0.5 op_sel_hi:[1,0]
	s_wait_loadcnt 0x5
	v_pk_mul_f16 v9, v22, v7 op_sel_hi:[0,1]
	s_delay_alu instid0(VALU_DEP_2) | instskip(SKIP_2) | instid1(VALU_DEP_3)
	v_pk_fma_f16 v8, v22, v7, v1 op_sel:[1,0,0]
	v_pk_fma_f16 v10, v22, v7, v1 op_sel:[1,0,0] neg_lo:[1,0,0] neg_hi:[1,0,0]
	v_pk_fma_f16 v1, v22, v7, v1 op_sel:[1,0,0] neg_lo:[0,0,1] neg_hi:[0,0,1]
	v_pk_add_f16 v7, v8, v9 op_sel:[0,1] op_sel_hi:[1,0]
	v_pk_add_f16 v8, v8, v9 op_sel:[0,1] op_sel_hi:[1,0] neg_lo:[0,1] neg_hi:[0,1]
	s_delay_alu instid0(VALU_DEP_4) | instskip(NEXT) | instid1(VALU_DEP_4)
	v_pk_add_f16 v10, v10, v9 op_sel:[0,1] op_sel_hi:[1,0] neg_lo:[0,1] neg_hi:[0,1]
	v_pk_add_f16 v1, v1, v9 op_sel:[0,1] op_sel_hi:[1,0] neg_lo:[0,1] neg_hi:[0,1]
	s_delay_alu instid0(VALU_DEP_3) | instskip(NEXT) | instid1(VALU_DEP_2)
	v_bfi_b32 v7, 0xffff, v7, v8
	v_bfi_b32 v1, 0xffff, v10, v1
	ds_store_b32 v13, v7
	ds_store_b32 v16, v1 offset:12800
	ds_load_b32 v1, v19 offset:4000
	ds_load_b32 v7, v16 offset:12000
	s_wait_dscnt 0x0
	v_pk_add_f16 v8, v1, v7 neg_lo:[0,1] neg_hi:[0,1]
	v_pk_add_f16 v1, v1, v7
	s_delay_alu instid0(VALU_DEP_1) | instskip(SKIP_1) | instid1(VALU_DEP_2)
	v_bfi_b32 v7, 0xffff, v8, v1
	v_bfi_b32 v1, 0xffff, v1, v8
	v_pk_mul_f16 v7, v7, 0.5 op_sel_hi:[1,0]
	s_delay_alu instid0(VALU_DEP_2) | instskip(SKIP_1) | instid1(VALU_DEP_2)
	v_pk_mul_f16 v8, v1, 0.5 op_sel_hi:[1,0]
	s_wait_loadcnt 0x4
	v_pk_mul_f16 v9, v11, v7 op_sel:[1,0]
	v_pk_mul_f16 v7, v11, v7 op_sel_hi:[0,1]
	s_delay_alu instid0(VALU_DEP_3) | instskip(NEXT) | instid1(VALU_DEP_3)
	v_lshrrev_b32_e32 v10, 16, v8
	v_lshrrev_b32_e32 v11, 16, v9
	v_pk_fma_f16 v1, v1, 0.5, v9 op_sel_hi:[1,0,1]
	v_sub_f16_e32 v8, v8, v9
	s_delay_alu instid0(VALU_DEP_3) | instskip(NEXT) | instid1(VALU_DEP_3)
	v_sub_f16_e32 v10, v11, v10
	v_pk_add_f16 v9, v1, v7 op_sel:[0,1] op_sel_hi:[1,0]
	v_pk_add_f16 v1, v1, v7 op_sel:[0,1] op_sel_hi:[1,0] neg_lo:[0,1] neg_hi:[0,1]
	v_lshrrev_b32_e32 v11, 16, v7
	s_delay_alu instid0(VALU_DEP_4) | instskip(NEXT) | instid1(VALU_DEP_3)
	v_sub_f16_e32 v7, v10, v7
	v_bfi_b32 v1, 0xffff, v9, v1
	s_delay_alu instid0(VALU_DEP_3)
	v_sub_f16_e32 v8, v8, v11
	ds_store_b16 v16, v7 offset:12002
	ds_store_b32 v19, v1 offset:4000
	ds_store_b16 v16, v8 offset:12000
	ds_load_b32 v1, v19 offset:4800
	ds_load_b32 v7, v16 offset:11200
	s_wait_dscnt 0x0
	v_pk_add_f16 v8, v1, v7 neg_lo:[0,1] neg_hi:[0,1]
	v_pk_add_f16 v1, v1, v7
	s_delay_alu instid0(VALU_DEP_1) | instskip(SKIP_1) | instid1(VALU_DEP_2)
	v_bfi_b32 v7, 0xffff, v8, v1
	v_bfi_b32 v1, 0xffff, v1, v8
	v_pk_mul_f16 v7, v7, 0.5 op_sel_hi:[1,0]
	s_delay_alu instid0(VALU_DEP_2) | instskip(SKIP_1) | instid1(VALU_DEP_2)
	v_pk_mul_f16 v8, v1, 0.5 op_sel_hi:[1,0]
	s_wait_loadcnt 0x3
	v_pk_mul_f16 v9, v18, v7 op_sel:[1,0]
	s_delay_alu instid0(VALU_DEP_2) | instskip(SKIP_1) | instid1(VALU_DEP_3)
	v_lshrrev_b32_e32 v10, 16, v8
	v_pk_mul_f16 v7, v18, v7 op_sel_hi:[0,1]
	v_lshrrev_b32_e32 v11, 16, v9
	v_pk_fma_f16 v1, v1, 0.5, v9 op_sel_hi:[1,0,1]
	v_sub_f16_e32 v8, v8, v9
	s_delay_alu instid0(VALU_DEP_3) | instskip(NEXT) | instid1(VALU_DEP_3)
	v_sub_f16_e32 v10, v11, v10
	v_pk_add_f16 v9, v1, v7 op_sel:[0,1] op_sel_hi:[1,0]
	v_pk_add_f16 v1, v1, v7 op_sel:[0,1] op_sel_hi:[1,0] neg_lo:[0,1] neg_hi:[0,1]
	v_lshrrev_b32_e32 v11, 16, v7
	s_delay_alu instid0(VALU_DEP_4) | instskip(NEXT) | instid1(VALU_DEP_3)
	v_sub_f16_e32 v7, v10, v7
	v_bfi_b32 v1, 0xffff, v9, v1
	s_delay_alu instid0(VALU_DEP_3)
	v_sub_f16_e32 v8, v8, v11
	ds_store_b16 v16, v7 offset:11202
	ds_store_b32 v19, v1 offset:4800
	ds_store_b16 v16, v8 offset:11200
	ds_load_b32 v1, v19 offset:5600
	ds_load_b32 v7, v16 offset:10400
	s_wait_dscnt 0x0
	v_pk_add_f16 v8, v1, v7 neg_lo:[0,1] neg_hi:[0,1]
	v_pk_add_f16 v1, v1, v7
	s_delay_alu instid0(VALU_DEP_1) | instskip(SKIP_1) | instid1(VALU_DEP_2)
	v_bfi_b32 v7, 0xffff, v8, v1
	v_bfi_b32 v1, 0xffff, v1, v8
	v_pk_mul_f16 v7, v7, 0.5 op_sel_hi:[1,0]
	s_delay_alu instid0(VALU_DEP_2) | instskip(NEXT) | instid1(VALU_DEP_1)
	v_pk_mul_f16 v8, v1, 0.5 op_sel_hi:[1,0]
	v_lshrrev_b32_e32 v10, 16, v8
	s_wait_loadcnt 0x2
	s_delay_alu instid0(VALU_DEP_3) | instskip(SKIP_1) | instid1(VALU_DEP_2)
	v_pk_mul_f16 v9, v12, v7 op_sel:[1,0]
	v_pk_mul_f16 v7, v12, v7 op_sel_hi:[0,1]
	v_lshrrev_b32_e32 v11, 16, v9
	v_pk_fma_f16 v1, v1, 0.5, v9 op_sel_hi:[1,0,1]
	v_sub_f16_e32 v8, v8, v9
	s_delay_alu instid0(VALU_DEP_3) | instskip(NEXT) | instid1(VALU_DEP_3)
	v_sub_f16_e32 v10, v11, v10
	v_pk_add_f16 v9, v1, v7 op_sel:[0,1] op_sel_hi:[1,0]
	v_pk_add_f16 v1, v1, v7 op_sel:[0,1] op_sel_hi:[1,0] neg_lo:[0,1] neg_hi:[0,1]
	v_lshrrev_b32_e32 v11, 16, v7
	s_delay_alu instid0(VALU_DEP_4) | instskip(NEXT) | instid1(VALU_DEP_3)
	v_sub_f16_e32 v7, v10, v7
	v_bfi_b32 v1, 0xffff, v9, v1
	s_delay_alu instid0(VALU_DEP_3)
	v_sub_f16_e32 v8, v8, v11
	ds_store_b16 v16, v7 offset:10402
	ds_store_b32 v19, v1 offset:5600
	ds_store_b16 v16, v8 offset:10400
	ds_load_b32 v1, v19 offset:6400
	ds_load_b32 v7, v16 offset:9600
	s_wait_dscnt 0x0
	v_pk_add_f16 v8, v1, v7 neg_lo:[0,1] neg_hi:[0,1]
	v_pk_add_f16 v1, v1, v7
	s_delay_alu instid0(VALU_DEP_1) | instskip(SKIP_1) | instid1(VALU_DEP_2)
	v_bfi_b32 v7, 0xffff, v8, v1
	v_bfi_b32 v1, 0xffff, v1, v8
	v_pk_mul_f16 v7, v7, 0.5 op_sel_hi:[1,0]
	s_delay_alu instid0(VALU_DEP_2) | instskip(SKIP_1) | instid1(VALU_DEP_2)
	v_pk_mul_f16 v8, v1, 0.5 op_sel_hi:[1,0]
	s_wait_loadcnt 0x1
	v_pk_mul_f16 v9, v17, v7 op_sel:[1,0]
	s_delay_alu instid0(VALU_DEP_2) | instskip(SKIP_1) | instid1(VALU_DEP_3)
	v_lshrrev_b32_e32 v10, 16, v8
	v_pk_mul_f16 v7, v17, v7 op_sel_hi:[0,1]
	v_lshrrev_b32_e32 v11, 16, v9
	v_pk_fma_f16 v1, v1, 0.5, v9 op_sel_hi:[1,0,1]
	v_sub_f16_e32 v8, v8, v9
	s_delay_alu instid0(VALU_DEP_3) | instskip(NEXT) | instid1(VALU_DEP_3)
	v_sub_f16_e32 v10, v11, v10
	v_pk_add_f16 v9, v1, v7 op_sel:[0,1] op_sel_hi:[1,0]
	v_pk_add_f16 v1, v1, v7 op_sel:[0,1] op_sel_hi:[1,0] neg_lo:[0,1] neg_hi:[0,1]
	v_lshrrev_b32_e32 v11, 16, v7
	s_delay_alu instid0(VALU_DEP_4) | instskip(NEXT) | instid1(VALU_DEP_3)
	v_sub_f16_e32 v7, v10, v7
	v_bfi_b32 v1, 0xffff, v9, v1
	s_delay_alu instid0(VALU_DEP_3)
	v_sub_f16_e32 v8, v8, v11
	ds_store_b16 v16, v7 offset:9602
	ds_store_b32 v19, v1 offset:6400
	ds_store_b16 v16, v8 offset:9600
	ds_load_b32 v1, v19 offset:7200
	ds_load_b32 v7, v16 offset:8800
	s_wait_dscnt 0x0
	v_pk_add_f16 v8, v1, v7 neg_lo:[0,1] neg_hi:[0,1]
	v_pk_add_f16 v1, v1, v7
	s_delay_alu instid0(VALU_DEP_1) | instskip(SKIP_1) | instid1(VALU_DEP_2)
	v_bfi_b32 v7, 0xffff, v8, v1
	v_bfi_b32 v1, 0xffff, v1, v8
	v_pk_mul_f16 v7, v7, 0.5 op_sel_hi:[1,0]
	s_delay_alu instid0(VALU_DEP_2) | instskip(SKIP_1) | instid1(VALU_DEP_2)
	v_pk_mul_f16 v1, v1, 0.5 op_sel_hi:[1,0]
	s_wait_loadcnt 0x0
	v_pk_mul_f16 v9, v6, v7 op_sel_hi:[0,1]
	s_delay_alu instid0(VALU_DEP_2) | instskip(SKIP_2) | instid1(VALU_DEP_3)
	v_pk_fma_f16 v8, v6, v7, v1 op_sel:[1,0,0]
	v_pk_fma_f16 v10, v6, v7, v1 op_sel:[1,0,0] neg_lo:[1,0,0] neg_hi:[1,0,0]
	v_pk_fma_f16 v1, v6, v7, v1 op_sel:[1,0,0] neg_lo:[0,0,1] neg_hi:[0,0,1]
	v_pk_add_f16 v6, v8, v9 op_sel:[0,1] op_sel_hi:[1,0]
	v_pk_add_f16 v7, v8, v9 op_sel:[0,1] op_sel_hi:[1,0] neg_lo:[0,1] neg_hi:[0,1]
	s_delay_alu instid0(VALU_DEP_4) | instskip(NEXT) | instid1(VALU_DEP_4)
	v_pk_add_f16 v8, v10, v9 op_sel:[0,1] op_sel_hi:[1,0] neg_lo:[0,1] neg_hi:[0,1]
	v_pk_add_f16 v1, v1, v9 op_sel:[0,1] op_sel_hi:[1,0] neg_lo:[0,1] neg_hi:[0,1]
	s_delay_alu instid0(VALU_DEP_3) | instskip(NEXT) | instid1(VALU_DEP_2)
	v_bfi_b32 v6, 0xffff, v6, v7
	v_bfi_b32 v1, 0xffff, v8, v1
	ds_store_b32 v19, v6 offset:7200
	ds_store_b32 v16, v1 offset:8800
	global_wb scope:SCOPE_SE
	s_wait_dscnt 0x0
	s_barrier_signal -1
	s_barrier_wait -1
	global_inv scope:SCOPE_SE
	s_and_saveexec_b32 s0, vcc_lo
	s_cbranch_execz .LBB0_20
; %bb.18:
	v_add_co_u32 v1, vcc_lo, s8, v2
	v_add_nc_u32_e32 v8, 0x600, v19
	s_wait_alu 0xfffd
	v_add_co_ci_u32_e32 v2, vcc_lo, s9, v3, vcc_lo
	v_add_nc_u32_e32 v3, 0x1200, v19
	v_add_nc_u32_e32 v10, 0xc00, v19
	;; [unrolled: 1-line block ×6, first 2 shown]
	ds_load_2addr_b32 v[6:7], v19 offset1:200
	ds_load_2addr_b32 v[8:9], v8 offset0:16 offset1:216
	ds_load_2addr_b32 v[10:11], v10 offset0:32 offset1:232
	;; [unrolled: 1-line block ×3, first 2 shown]
	ds_load_2addr_b32 v[14:15], v14 offset1:200
	ds_load_2addr_b32 v[16:17], v16 offset0:16 offset1:216
	ds_load_2addr_b32 v[20:21], v18 offset0:32 offset1:232
	;; [unrolled: 1-line block ×3, first 2 shown]
	v_add_nc_u32_e32 v18, 0x3200, v19
	v_add_nc_u32_e32 v24, 0x3800, v19
	ds_load_2addr_b32 v[18:19], v18 offset1:200
	ds_load_2addr_b32 v[24:25], v24 offset0:16 offset1:216
	v_add_co_u32 v3, vcc_lo, v1, v4
	s_wait_alu 0xfffd
	v_add_co_ci_u32_e32 v4, vcc_lo, v2, v5, vcc_lo
	v_cmp_eq_u32_e32 vcc_lo, 0xc7, v0
	s_wait_dscnt 0x9
	s_clause 0x1
	global_store_b32 v[3:4], v6, off
	global_store_b32 v[3:4], v7, off offset:800
	s_wait_dscnt 0x8
	s_clause 0x1
	global_store_b32 v[3:4], v8, off offset:1600
	global_store_b32 v[3:4], v9, off offset:2400
	s_wait_dscnt 0x7
	s_clause 0x1
	global_store_b32 v[3:4], v10, off offset:3200
	;; [unrolled: 4-line block ×9, first 2 shown]
	global_store_b32 v[3:4], v25, off offset:15200
	s_and_b32 exec_lo, exec_lo, vcc_lo
	s_cbranch_execz .LBB0_20
; %bb.19:
	v_mov_b32_e32 v0, 0
	ds_load_b32 v0, v0 offset:16000
	s_wait_dscnt 0x0
	global_store_b32 v[1:2], v0, off offset:16000
.LBB0_20:
	s_nop 0
	s_sendmsg sendmsg(MSG_DEALLOC_VGPRS)
	s_endpgm
	.section	.rodata,"a",@progbits
	.p2align	6, 0x0
	.amdhsa_kernel fft_rtc_back_len4000_factors_10_10_10_4_wgs_200_tpt_200_halfLds_half_ip_CI_unitstride_sbrr_R2C_dirReg
		.amdhsa_group_segment_fixed_size 0
		.amdhsa_private_segment_fixed_size 0
		.amdhsa_kernarg_size 88
		.amdhsa_user_sgpr_count 2
		.amdhsa_user_sgpr_dispatch_ptr 0
		.amdhsa_user_sgpr_queue_ptr 0
		.amdhsa_user_sgpr_kernarg_segment_ptr 1
		.amdhsa_user_sgpr_dispatch_id 0
		.amdhsa_user_sgpr_private_segment_size 0
		.amdhsa_wavefront_size32 1
		.amdhsa_uses_dynamic_stack 0
		.amdhsa_enable_private_segment 0
		.amdhsa_system_sgpr_workgroup_id_x 1
		.amdhsa_system_sgpr_workgroup_id_y 0
		.amdhsa_system_sgpr_workgroup_id_z 0
		.amdhsa_system_sgpr_workgroup_info 0
		.amdhsa_system_vgpr_workitem_id 0
		.amdhsa_next_free_vgpr 88
		.amdhsa_next_free_sgpr 32
		.amdhsa_reserve_vcc 1
		.amdhsa_float_round_mode_32 0
		.amdhsa_float_round_mode_16_64 0
		.amdhsa_float_denorm_mode_32 3
		.amdhsa_float_denorm_mode_16_64 3
		.amdhsa_fp16_overflow 0
		.amdhsa_workgroup_processor_mode 1
		.amdhsa_memory_ordered 1
		.amdhsa_forward_progress 0
		.amdhsa_round_robin_scheduling 0
		.amdhsa_exception_fp_ieee_invalid_op 0
		.amdhsa_exception_fp_denorm_src 0
		.amdhsa_exception_fp_ieee_div_zero 0
		.amdhsa_exception_fp_ieee_overflow 0
		.amdhsa_exception_fp_ieee_underflow 0
		.amdhsa_exception_fp_ieee_inexact 0
		.amdhsa_exception_int_div_zero 0
	.end_amdhsa_kernel
	.text
.Lfunc_end0:
	.size	fft_rtc_back_len4000_factors_10_10_10_4_wgs_200_tpt_200_halfLds_half_ip_CI_unitstride_sbrr_R2C_dirReg, .Lfunc_end0-fft_rtc_back_len4000_factors_10_10_10_4_wgs_200_tpt_200_halfLds_half_ip_CI_unitstride_sbrr_R2C_dirReg
                                        ; -- End function
	.section	.AMDGPU.csdata,"",@progbits
; Kernel info:
; codeLenInByte = 14988
; NumSgprs: 34
; NumVgprs: 88
; ScratchSize: 0
; MemoryBound: 0
; FloatMode: 240
; IeeeMode: 1
; LDSByteSize: 0 bytes/workgroup (compile time only)
; SGPRBlocks: 4
; VGPRBlocks: 10
; NumSGPRsForWavesPerEU: 34
; NumVGPRsForWavesPerEU: 88
; Occupancy: 16
; WaveLimiterHint : 1
; COMPUTE_PGM_RSRC2:SCRATCH_EN: 0
; COMPUTE_PGM_RSRC2:USER_SGPR: 2
; COMPUTE_PGM_RSRC2:TRAP_HANDLER: 0
; COMPUTE_PGM_RSRC2:TGID_X_EN: 1
; COMPUTE_PGM_RSRC2:TGID_Y_EN: 0
; COMPUTE_PGM_RSRC2:TGID_Z_EN: 0
; COMPUTE_PGM_RSRC2:TIDIG_COMP_CNT: 0
	.text
	.p2alignl 7, 3214868480
	.fill 96, 4, 3214868480
	.type	__hip_cuid_17845f588057ac4b,@object ; @__hip_cuid_17845f588057ac4b
	.section	.bss,"aw",@nobits
	.globl	__hip_cuid_17845f588057ac4b
__hip_cuid_17845f588057ac4b:
	.byte	0                               ; 0x0
	.size	__hip_cuid_17845f588057ac4b, 1

	.ident	"AMD clang version 19.0.0git (https://github.com/RadeonOpenCompute/llvm-project roc-6.4.0 25133 c7fe45cf4b819c5991fe208aaa96edf142730f1d)"
	.section	".note.GNU-stack","",@progbits
	.addrsig
	.addrsig_sym __hip_cuid_17845f588057ac4b
	.amdgpu_metadata
---
amdhsa.kernels:
  - .args:
      - .actual_access:  read_only
        .address_space:  global
        .offset:         0
        .size:           8
        .value_kind:     global_buffer
      - .offset:         8
        .size:           8
        .value_kind:     by_value
      - .actual_access:  read_only
        .address_space:  global
        .offset:         16
        .size:           8
        .value_kind:     global_buffer
      - .actual_access:  read_only
        .address_space:  global
        .offset:         24
        .size:           8
        .value_kind:     global_buffer
      - .offset:         32
        .size:           8
        .value_kind:     by_value
      - .actual_access:  read_only
        .address_space:  global
        .offset:         40
        .size:           8
        .value_kind:     global_buffer
      - .actual_access:  read_only
        .address_space:  global
        .offset:         48
        .size:           8
        .value_kind:     global_buffer
      - .offset:         56
        .size:           4
        .value_kind:     by_value
      - .actual_access:  read_only
        .address_space:  global
        .offset:         64
        .size:           8
        .value_kind:     global_buffer
      - .actual_access:  read_only
        .address_space:  global
        .offset:         72
        .size:           8
        .value_kind:     global_buffer
      - .address_space:  global
        .offset:         80
        .size:           8
        .value_kind:     global_buffer
    .group_segment_fixed_size: 0
    .kernarg_segment_align: 8
    .kernarg_segment_size: 88
    .language:       OpenCL C
    .language_version:
      - 2
      - 0
    .max_flat_workgroup_size: 200
    .name:           fft_rtc_back_len4000_factors_10_10_10_4_wgs_200_tpt_200_halfLds_half_ip_CI_unitstride_sbrr_R2C_dirReg
    .private_segment_fixed_size: 0
    .sgpr_count:     34
    .sgpr_spill_count: 0
    .symbol:         fft_rtc_back_len4000_factors_10_10_10_4_wgs_200_tpt_200_halfLds_half_ip_CI_unitstride_sbrr_R2C_dirReg.kd
    .uniform_work_group_size: 1
    .uses_dynamic_stack: false
    .vgpr_count:     88
    .vgpr_spill_count: 0
    .wavefront_size: 32
    .workgroup_processor_mode: 1
amdhsa.target:   amdgcn-amd-amdhsa--gfx1201
amdhsa.version:
  - 1
  - 2
...

	.end_amdgpu_metadata
